;; amdgpu-corpus repo=ROCm/rocFFT kind=compiled arch=gfx1030 opt=O3
	.text
	.amdgcn_target "amdgcn-amd-amdhsa--gfx1030"
	.amdhsa_code_object_version 6
	.protected	fft_rtc_fwd_len2700_factors_3_10_10_3_3_wgs_90_tpt_90_halfLds_dp_op_CI_CI_unitstride_sbrr_C2R_dirReg ; -- Begin function fft_rtc_fwd_len2700_factors_3_10_10_3_3_wgs_90_tpt_90_halfLds_dp_op_CI_CI_unitstride_sbrr_C2R_dirReg
	.globl	fft_rtc_fwd_len2700_factors_3_10_10_3_3_wgs_90_tpt_90_halfLds_dp_op_CI_CI_unitstride_sbrr_C2R_dirReg
	.p2align	8
	.type	fft_rtc_fwd_len2700_factors_3_10_10_3_3_wgs_90_tpt_90_halfLds_dp_op_CI_CI_unitstride_sbrr_C2R_dirReg,@function
fft_rtc_fwd_len2700_factors_3_10_10_3_3_wgs_90_tpt_90_halfLds_dp_op_CI_CI_unitstride_sbrr_C2R_dirReg: ; @fft_rtc_fwd_len2700_factors_3_10_10_3_3_wgs_90_tpt_90_halfLds_dp_op_CI_CI_unitstride_sbrr_C2R_dirReg
; %bb.0:
	s_clause 0x2
	s_load_dwordx4 s[16:19], s[4:5], 0x0
	s_load_dwordx4 s[12:15], s[4:5], 0x58
	;; [unrolled: 1-line block ×3, first 2 shown]
	v_mul_u32_u24_e32 v1, 0x2d9, v0
	v_mov_b32_e32 v3, 0
	v_add_nc_u32_sdwa v5, s6, v1 dst_sel:DWORD dst_unused:UNUSED_PAD src0_sel:DWORD src1_sel:WORD_1
	v_mov_b32_e32 v1, 0
	v_mov_b32_e32 v6, v3
	v_mov_b32_e32 v2, 0
	s_waitcnt lgkmcnt(0)
	v_cmp_lt_u64_e64 s0, s[18:19], 2
	s_and_b32 vcc_lo, exec_lo, s0
	s_cbranch_vccnz .LBB0_8
; %bb.1:
	s_load_dwordx2 s[0:1], s[4:5], 0x10
	v_mov_b32_e32 v1, 0
	v_mov_b32_e32 v2, 0
	s_add_u32 s2, s10, 8
	s_addc_u32 s3, s11, 0
	s_add_u32 s6, s8, 8
	s_addc_u32 s7, s9, 0
	v_mov_b32_e32 v63, v2
	v_mov_b32_e32 v62, v1
	s_mov_b64 s[22:23], 1
	s_waitcnt lgkmcnt(0)
	s_add_u32 s20, s0, 8
	s_addc_u32 s21, s1, 0
.LBB0_2:                                ; =>This Inner Loop Header: Depth=1
	s_load_dwordx2 s[24:25], s[20:21], 0x0
                                        ; implicit-def: $vgpr64_vgpr65
	s_mov_b32 s0, exec_lo
	s_waitcnt lgkmcnt(0)
	v_or_b32_e32 v4, s25, v6
	v_cmpx_ne_u64_e32 0, v[3:4]
	s_xor_b32 s1, exec_lo, s0
	s_cbranch_execz .LBB0_4
; %bb.3:                                ;   in Loop: Header=BB0_2 Depth=1
	v_cvt_f32_u32_e32 v4, s24
	v_cvt_f32_u32_e32 v7, s25
	s_sub_u32 s0, 0, s24
	s_subb_u32 s26, 0, s25
	v_fmac_f32_e32 v4, 0x4f800000, v7
	v_rcp_f32_e32 v4, v4
	v_mul_f32_e32 v4, 0x5f7ffffc, v4
	v_mul_f32_e32 v7, 0x2f800000, v4
	v_trunc_f32_e32 v7, v7
	v_fmac_f32_e32 v4, 0xcf800000, v7
	v_cvt_u32_f32_e32 v7, v7
	v_cvt_u32_f32_e32 v4, v4
	v_mul_lo_u32 v8, s0, v7
	v_mul_hi_u32 v9, s0, v4
	v_mul_lo_u32 v10, s26, v4
	v_add_nc_u32_e32 v8, v9, v8
	v_mul_lo_u32 v9, s0, v4
	v_add_nc_u32_e32 v8, v8, v10
	v_mul_hi_u32 v10, v4, v9
	v_mul_lo_u32 v11, v4, v8
	v_mul_hi_u32 v12, v4, v8
	v_mul_hi_u32 v13, v7, v9
	v_mul_lo_u32 v9, v7, v9
	v_mul_hi_u32 v14, v7, v8
	v_mul_lo_u32 v8, v7, v8
	v_add_co_u32 v10, vcc_lo, v10, v11
	v_add_co_ci_u32_e32 v11, vcc_lo, 0, v12, vcc_lo
	v_add_co_u32 v9, vcc_lo, v10, v9
	v_add_co_ci_u32_e32 v9, vcc_lo, v11, v13, vcc_lo
	v_add_co_ci_u32_e32 v10, vcc_lo, 0, v14, vcc_lo
	v_add_co_u32 v8, vcc_lo, v9, v8
	v_add_co_ci_u32_e32 v9, vcc_lo, 0, v10, vcc_lo
	v_add_co_u32 v4, vcc_lo, v4, v8
	v_add_co_ci_u32_e32 v7, vcc_lo, v7, v9, vcc_lo
	v_mul_hi_u32 v8, s0, v4
	v_mul_lo_u32 v10, s26, v4
	v_mul_lo_u32 v9, s0, v7
	v_add_nc_u32_e32 v8, v8, v9
	v_mul_lo_u32 v9, s0, v4
	v_add_nc_u32_e32 v8, v8, v10
	v_mul_hi_u32 v10, v4, v9
	v_mul_lo_u32 v11, v4, v8
	v_mul_hi_u32 v12, v4, v8
	v_mul_hi_u32 v13, v7, v9
	v_mul_lo_u32 v9, v7, v9
	v_mul_hi_u32 v14, v7, v8
	v_mul_lo_u32 v8, v7, v8
	v_add_co_u32 v10, vcc_lo, v10, v11
	v_add_co_ci_u32_e32 v11, vcc_lo, 0, v12, vcc_lo
	v_add_co_u32 v9, vcc_lo, v10, v9
	v_add_co_ci_u32_e32 v9, vcc_lo, v11, v13, vcc_lo
	v_add_co_ci_u32_e32 v10, vcc_lo, 0, v14, vcc_lo
	v_add_co_u32 v8, vcc_lo, v9, v8
	v_add_co_ci_u32_e32 v9, vcc_lo, 0, v10, vcc_lo
	v_add_co_u32 v4, vcc_lo, v4, v8
	v_add_co_ci_u32_e32 v11, vcc_lo, v7, v9, vcc_lo
	v_mul_hi_u32 v13, v5, v4
	v_mad_u64_u32 v[9:10], null, v6, v4, 0
	v_mad_u64_u32 v[7:8], null, v5, v11, 0
	;; [unrolled: 1-line block ×3, first 2 shown]
	v_add_co_u32 v4, vcc_lo, v13, v7
	v_add_co_ci_u32_e32 v7, vcc_lo, 0, v8, vcc_lo
	v_add_co_u32 v4, vcc_lo, v4, v9
	v_add_co_ci_u32_e32 v4, vcc_lo, v7, v10, vcc_lo
	v_add_co_ci_u32_e32 v7, vcc_lo, 0, v12, vcc_lo
	v_add_co_u32 v4, vcc_lo, v4, v11
	v_add_co_ci_u32_e32 v9, vcc_lo, 0, v7, vcc_lo
	v_mul_lo_u32 v10, s25, v4
	v_mad_u64_u32 v[7:8], null, s24, v4, 0
	v_mul_lo_u32 v11, s24, v9
	v_sub_co_u32 v7, vcc_lo, v5, v7
	v_add3_u32 v8, v8, v11, v10
	v_sub_nc_u32_e32 v10, v6, v8
	v_subrev_co_ci_u32_e64 v10, s0, s25, v10, vcc_lo
	v_add_co_u32 v11, s0, v4, 2
	v_add_co_ci_u32_e64 v12, s0, 0, v9, s0
	v_sub_co_u32 v13, s0, v7, s24
	v_sub_co_ci_u32_e32 v8, vcc_lo, v6, v8, vcc_lo
	v_subrev_co_ci_u32_e64 v10, s0, 0, v10, s0
	v_cmp_le_u32_e32 vcc_lo, s24, v13
	v_cmp_eq_u32_e64 s0, s25, v8
	v_cndmask_b32_e64 v13, 0, -1, vcc_lo
	v_cmp_le_u32_e32 vcc_lo, s25, v10
	v_cndmask_b32_e64 v14, 0, -1, vcc_lo
	v_cmp_le_u32_e32 vcc_lo, s24, v7
	;; [unrolled: 2-line block ×3, first 2 shown]
	v_cndmask_b32_e64 v15, 0, -1, vcc_lo
	v_cmp_eq_u32_e32 vcc_lo, s25, v10
	v_cndmask_b32_e64 v7, v15, v7, s0
	v_cndmask_b32_e32 v10, v14, v13, vcc_lo
	v_add_co_u32 v13, vcc_lo, v4, 1
	v_add_co_ci_u32_e32 v14, vcc_lo, 0, v9, vcc_lo
	v_cmp_ne_u32_e32 vcc_lo, 0, v10
	v_cndmask_b32_e32 v8, v14, v12, vcc_lo
	v_cndmask_b32_e32 v10, v13, v11, vcc_lo
	v_cmp_ne_u32_e32 vcc_lo, 0, v7
	v_cndmask_b32_e32 v65, v9, v8, vcc_lo
	v_cndmask_b32_e32 v64, v4, v10, vcc_lo
.LBB0_4:                                ;   in Loop: Header=BB0_2 Depth=1
	s_andn2_saveexec_b32 s0, s1
	s_cbranch_execz .LBB0_6
; %bb.5:                                ;   in Loop: Header=BB0_2 Depth=1
	v_cvt_f32_u32_e32 v4, s24
	s_sub_i32 s1, 0, s24
	v_mov_b32_e32 v65, v3
	v_rcp_iflag_f32_e32 v4, v4
	v_mul_f32_e32 v4, 0x4f7ffffe, v4
	v_cvt_u32_f32_e32 v4, v4
	v_mul_lo_u32 v7, s1, v4
	v_mul_hi_u32 v7, v4, v7
	v_add_nc_u32_e32 v4, v4, v7
	v_mul_hi_u32 v4, v5, v4
	v_mul_lo_u32 v7, v4, s24
	v_add_nc_u32_e32 v8, 1, v4
	v_sub_nc_u32_e32 v7, v5, v7
	v_subrev_nc_u32_e32 v9, s24, v7
	v_cmp_le_u32_e32 vcc_lo, s24, v7
	v_cndmask_b32_e32 v7, v7, v9, vcc_lo
	v_cndmask_b32_e32 v4, v4, v8, vcc_lo
	v_cmp_le_u32_e32 vcc_lo, s24, v7
	v_add_nc_u32_e32 v8, 1, v4
	v_cndmask_b32_e32 v64, v4, v8, vcc_lo
.LBB0_6:                                ;   in Loop: Header=BB0_2 Depth=1
	s_or_b32 exec_lo, exec_lo, s0
	v_mul_lo_u32 v4, v65, s24
	v_mul_lo_u32 v9, v64, s25
	s_load_dwordx2 s[0:1], s[6:7], 0x0
	v_mad_u64_u32 v[7:8], null, v64, s24, 0
	s_load_dwordx2 s[24:25], s[2:3], 0x0
	s_add_u32 s22, s22, 1
	s_addc_u32 s23, s23, 0
	s_add_u32 s2, s2, 8
	s_addc_u32 s3, s3, 0
	s_add_u32 s6, s6, 8
	v_add3_u32 v4, v8, v9, v4
	v_sub_co_u32 v5, vcc_lo, v5, v7
	s_addc_u32 s7, s7, 0
	s_add_u32 s20, s20, 8
	v_sub_co_ci_u32_e32 v4, vcc_lo, v6, v4, vcc_lo
	s_addc_u32 s21, s21, 0
	s_waitcnt lgkmcnt(0)
	v_mul_lo_u32 v6, s0, v4
	v_mul_lo_u32 v7, s1, v5
	v_mad_u64_u32 v[1:2], null, s0, v5, v[1:2]
	v_mul_lo_u32 v4, s24, v4
	v_mul_lo_u32 v8, s25, v5
	v_mad_u64_u32 v[62:63], null, s24, v5, v[62:63]
	v_cmp_ge_u64_e64 s0, s[22:23], s[18:19]
	v_add3_u32 v2, v7, v2, v6
	v_add3_u32 v63, v8, v63, v4
	s_and_b32 vcc_lo, exec_lo, s0
	s_cbranch_vccnz .LBB0_9
; %bb.7:                                ;   in Loop: Header=BB0_2 Depth=1
	v_mov_b32_e32 v5, v64
	v_mov_b32_e32 v6, v65
	s_branch .LBB0_2
.LBB0_8:
	v_mov_b32_e32 v63, v2
	v_mov_b32_e32 v65, v6
	;; [unrolled: 1-line block ×4, first 2 shown]
.LBB0_9:
	s_load_dwordx2 s[0:1], s[4:5], 0x28
	v_mul_hi_u32 v3, 0x2d82d83, v0
	s_lshl_b64 s[2:3], s[18:19], 3
                                        ; implicit-def: $vgpr60
	s_add_u32 s4, s10, s2
	s_addc_u32 s5, s11, s3
	s_waitcnt lgkmcnt(0)
	v_cmp_gt_u64_e32 vcc_lo, s[0:1], v[64:65]
	v_cmp_le_u64_e64 s0, s[0:1], v[64:65]
	s_and_saveexec_b32 s1, s0
	s_xor_b32 s0, exec_lo, s1
; %bb.10:
	v_mul_u32_u24_e32 v1, 0x5a, v3
                                        ; implicit-def: $vgpr3
	v_sub_nc_u32_e32 v60, v0, v1
                                        ; implicit-def: $vgpr0
                                        ; implicit-def: $vgpr1_vgpr2
; %bb.11:
	s_or_saveexec_b32 s1, s0
	s_load_dwordx2 s[18:19], s[4:5], 0x0
	s_xor_b32 exec_lo, exec_lo, s1
	s_cbranch_execz .LBB0_15
; %bb.12:
	s_add_u32 s2, s8, s2
	s_addc_u32 s3, s9, s3
	v_lshlrev_b64 v[1:2], 4, v[1:2]
	s_load_dwordx2 s[2:3], s[2:3], 0x0
	s_waitcnt lgkmcnt(0)
	v_mul_lo_u32 v6, s3, v64
	v_mul_lo_u32 v7, s2, v65
	v_mad_u64_u32 v[4:5], null, s2, v64, 0
	v_add3_u32 v5, v5, v7, v6
	v_mul_u32_u24_e32 v6, 0x5a, v3
	v_lshlrev_b64 v[3:4], 4, v[4:5]
	v_sub_nc_u32_e32 v60, v0, v6
	v_lshlrev_b32_e32 v61, 4, v60
	v_add_co_u32 v0, s0, s12, v3
	v_add_co_ci_u32_e64 v3, s0, s13, v4, s0
	v_add_co_u32 v0, s0, v0, v1
	v_add_co_ci_u32_e64 v1, s0, v3, v2, s0
	;; [unrolled: 2-line block ×3, first 2 shown]
	s_clause 0x1
	global_load_dwordx4 v[2:5], v[58:59], off
	global_load_dwordx4 v[6:9], v[58:59], off offset:1440
	v_add_co_u32 v10, s0, 0x800, v58
	v_add_co_ci_u32_e64 v11, s0, 0, v59, s0
	v_add_co_u32 v18, s0, 0x1000, v58
	v_add_co_ci_u32_e64 v19, s0, 0, v59, s0
	;; [unrolled: 2-line block ×19, first 2 shown]
	v_add_co_u32 v58, s0, 0xa000, v58
	s_clause 0xb
	global_load_dwordx4 v[10:13], v[10:11], off offset:832
	global_load_dwordx4 v[14:17], v[18:19], off offset:224
	;; [unrolled: 1-line block ×12, first 2 shown]
	v_add_co_ci_u32_e64 v59, s0, 0, v59, s0
	s_clause 0xf
	global_load_dwordx4 v[66:69], v[66:67], off offset:1728
	global_load_dwordx4 v[70:73], v[70:71], off offset:1120
	;; [unrolled: 1-line block ×16, first 2 shown]
	v_add_nc_u32_e32 v58, 0, v61
	v_cmp_eq_u32_e64 s0, 0x59, v60
	s_waitcnt vmcnt(29)
	ds_write_b128 v58, v[2:5]
	s_waitcnt vmcnt(28)
	ds_write_b128 v58, v[6:9] offset:1440
	s_waitcnt vmcnt(27)
	ds_write_b128 v58, v[10:13] offset:2880
	;; [unrolled: 2-line block ×29, first 2 shown]
	s_and_saveexec_b32 s2, s0
	s_cbranch_execz .LBB0_14
; %bb.13:
	v_add_co_u32 v0, s0, 0xa800, v0
	v_add_co_ci_u32_e64 v1, s0, 0, v1, s0
	v_mov_b32_e32 v4, 0
	v_mov_b32_e32 v60, 0x59
	global_load_dwordx4 v[0:3], v[0:1], off offset:192
	s_waitcnt vmcnt(0)
	ds_write_b128 v4, v[0:3] offset:43200
.LBB0_14:
	s_or_b32 exec_lo, exec_lo, s2
.LBB0_15:
	s_or_b32 exec_lo, exec_lo, s1
	v_lshlrev_b32_e32 v0, 4, v60
	s_waitcnt lgkmcnt(0)
	s_barrier
	buffer_gl0_inv
	s_add_u32 s1, s16, 0xa890
	v_add_nc_u32_e32 v162, 0, v0
	v_sub_nc_u32_e32 v10, 0, v0
	s_addc_u32 s2, s17, 0
	s_mov_b32 s3, exec_lo
                                        ; implicit-def: $vgpr4_vgpr5
	ds_read_b64 v[6:7], v162
	ds_read_b64 v[8:9], v10 offset:43200
	s_waitcnt lgkmcnt(0)
	v_add_f64 v[0:1], v[6:7], v[8:9]
	v_add_f64 v[2:3], v[6:7], -v[8:9]
	v_cmpx_ne_u32_e32 0, v60
	s_xor_b32 s3, exec_lo, s3
	s_cbranch_execz .LBB0_17
; %bb.16:
	v_mov_b32_e32 v61, 0
	v_add_f64 v[13:14], v[6:7], v[8:9]
	v_add_f64 v[15:16], v[6:7], -v[8:9]
	v_lshlrev_b64 v[0:1], 4, v[60:61]
	v_add_co_u32 v0, s0, s1, v0
	v_add_co_ci_u32_e64 v1, s0, s2, v1, s0
	global_load_dwordx4 v[2:5], v[0:1], off
	ds_read_b64 v[0:1], v10 offset:43208
	ds_read_b64 v[11:12], v162 offset:8
	s_waitcnt lgkmcnt(0)
	v_add_f64 v[6:7], v[0:1], v[11:12]
	v_add_f64 v[0:1], v[11:12], -v[0:1]
	s_waitcnt vmcnt(0)
	v_fma_f64 v[8:9], v[15:16], v[4:5], v[13:14]
	v_fma_f64 v[11:12], -v[15:16], v[4:5], v[13:14]
	v_fma_f64 v[13:14], v[6:7], v[4:5], -v[0:1]
	v_fma_f64 v[4:5], v[6:7], v[4:5], v[0:1]
	v_fma_f64 v[0:1], -v[6:7], v[2:3], v[8:9]
	v_fma_f64 v[6:7], v[6:7], v[2:3], v[11:12]
	v_fma_f64 v[8:9], v[15:16], v[2:3], v[13:14]
	;; [unrolled: 1-line block ×3, first 2 shown]
	v_mov_b32_e32 v4, v60
	v_mov_b32_e32 v5, v61
	ds_write_b128 v10, v[6:9] offset:43200
.LBB0_17:
	s_andn2_saveexec_b32 s0, s3
	s_cbranch_execz .LBB0_19
; %bb.18:
	v_mov_b32_e32 v8, 0
	ds_read_b128 v[4:7], v8 offset:21600
	s_waitcnt lgkmcnt(0)
	v_add_f64 v[11:12], v[4:5], v[4:5]
	v_mul_f64 v[13:14], v[6:7], -2.0
	v_mov_b32_e32 v4, 0
	v_mov_b32_e32 v5, 0
	ds_write_b128 v8, v[11:14] offset:21600
.LBB0_19:
	s_or_b32 exec_lo, exec_lo, s0
	v_lshlrev_b64 v[4:5], 4, v[4:5]
	ds_write_b128 v162, v[0:3]
	v_and_b32_e32 v167, 0xff, v60
	v_mov_b32_e32 v165, 9
	s_mov_b32 s12, 0xe8584caa
	s_mov_b32 s13, 0x3febb67a
	v_add_co_u32 v4, s0, s1, v4
	v_add_co_ci_u32_e64 v5, s0, s2, v5, s0
	v_mul_lo_u16 v59, 0xab, v167
	v_add_co_u32 v11, s0, 0x800, v4
	global_load_dwordx4 v[6:9], v[4:5], off offset:1440
	v_add_co_ci_u32_e64 v12, s0, 0, v5, s0
	v_add_co_u32 v23, s0, 0x1000, v4
	v_add_co_ci_u32_e64 v24, s0, 0, v5, s0
	global_load_dwordx4 v[11:14], v[11:12], off offset:832
	v_lshrrev_b16 v61, 9, v59
	s_mov_b32 s21, 0xbfebb67a
	global_load_dwordx4 v[15:18], v[23:24], off offset:224
	ds_read_b128 v[0:3], v162 offset:1440
	ds_read_b128 v[19:22], v10 offset:41760
	global_load_dwordx4 v[23:26], v[23:24], off offset:1664
	v_mul_lo_u16 v59, v61, 3
	s_mov_b32 s20, s12
	s_mov_b32 s8, 0x134454ff
	;; [unrolled: 1-line block ×4, first 2 shown]
	v_sub_nc_u16 v172, v60, v59
	s_mov_b32 s6, s8
	s_mov_b32 s2, 0x4755a5e
	;; [unrolled: 1-line block ×9, first 2 shown]
	s_waitcnt lgkmcnt(0)
	v_add_f64 v[27:28], v[0:1], v[19:20]
	v_add_f64 v[29:30], v[21:22], v[2:3]
	v_add_f64 v[31:32], v[0:1], -v[19:20]
	v_add_f64 v[0:1], v[2:3], -v[21:22]
	s_waitcnt vmcnt(3)
	v_fma_f64 v[2:3], v[31:32], v[8:9], v[27:28]
	v_fma_f64 v[19:20], v[29:30], v[8:9], v[0:1]
	v_fma_f64 v[21:22], -v[31:32], v[8:9], v[27:28]
	v_fma_f64 v[8:9], v[29:30], v[8:9], -v[0:1]
	v_add_co_u32 v27, s0, 0x1800, v4
	v_add_co_ci_u32_e64 v28, s0, 0, v5, s0
	v_fma_f64 v[0:1], -v[29:30], v[6:7], v[2:3]
	v_fma_f64 v[2:3], v[31:32], v[6:7], v[19:20]
	v_fma_f64 v[19:20], v[29:30], v[6:7], v[21:22]
	;; [unrolled: 1-line block ×3, first 2 shown]
	ds_write_b128 v162, v[0:3] offset:1440
	ds_write_b128 v10, v[19:22] offset:41760
	ds_read_b128 v[0:3], v162 offset:2880
	ds_read_b128 v[6:9], v10 offset:40320
	global_load_dwordx4 v[19:22], v[27:28], off offset:1056
	s_waitcnt lgkmcnt(0)
	v_add_f64 v[27:28], v[0:1], v[6:7]
	v_add_f64 v[29:30], v[8:9], v[2:3]
	v_add_f64 v[31:32], v[0:1], -v[6:7]
	v_add_f64 v[0:1], v[2:3], -v[8:9]
	s_waitcnt vmcnt(3)
	v_fma_f64 v[2:3], v[31:32], v[13:14], v[27:28]
	v_fma_f64 v[6:7], v[29:30], v[13:14], v[0:1]
	v_fma_f64 v[8:9], -v[31:32], v[13:14], v[27:28]
	v_fma_f64 v[13:14], v[29:30], v[13:14], -v[0:1]
	v_add_co_u32 v27, s0, 0x2000, v4
	v_add_co_ci_u32_e64 v28, s0, 0, v5, s0
	v_fma_f64 v[0:1], -v[29:30], v[11:12], v[2:3]
	v_fma_f64 v[2:3], v[31:32], v[11:12], v[6:7]
	v_fma_f64 v[6:7], v[29:30], v[11:12], v[8:9]
	;; [unrolled: 1-line block ×3, first 2 shown]
	ds_write_b128 v162, v[0:3] offset:2880
	ds_write_b128 v10, v[6:9] offset:40320
	ds_read_b128 v[0:3], v162 offset:4320
	ds_read_b128 v[6:9], v10 offset:38880
	global_load_dwordx4 v[11:14], v[27:28], off offset:448
	s_waitcnt lgkmcnt(0)
	v_add_f64 v[29:30], v[0:1], v[6:7]
	v_add_f64 v[31:32], v[8:9], v[2:3]
	v_add_f64 v[33:34], v[0:1], -v[6:7]
	v_add_f64 v[0:1], v[2:3], -v[8:9]
	s_waitcnt vmcnt(3)
	v_fma_f64 v[2:3], v[33:34], v[17:18], v[29:30]
	v_fma_f64 v[6:7], v[31:32], v[17:18], v[0:1]
	v_fma_f64 v[8:9], -v[33:34], v[17:18], v[29:30]
	v_fma_f64 v[17:18], v[31:32], v[17:18], -v[0:1]
	v_fma_f64 v[0:1], -v[31:32], v[15:16], v[2:3]
	v_fma_f64 v[2:3], v[33:34], v[15:16], v[6:7]
	v_fma_f64 v[6:7], v[31:32], v[15:16], v[8:9]
	;; [unrolled: 1-line block ×3, first 2 shown]
	ds_write_b128 v162, v[0:3] offset:4320
	ds_write_b128 v10, v[6:9] offset:38880
	ds_read_b128 v[0:3], v162 offset:5760
	ds_read_b128 v[6:9], v10 offset:37440
	global_load_dwordx4 v[15:18], v[27:28], off offset:1888
	s_waitcnt lgkmcnt(0)
	v_add_f64 v[27:28], v[0:1], v[6:7]
	v_add_f64 v[29:30], v[8:9], v[2:3]
	v_add_f64 v[31:32], v[0:1], -v[6:7]
	v_add_f64 v[0:1], v[2:3], -v[8:9]
	s_waitcnt vmcnt(3)
	v_fma_f64 v[2:3], v[31:32], v[25:26], v[27:28]
	v_fma_f64 v[6:7], v[29:30], v[25:26], v[0:1]
	v_fma_f64 v[8:9], -v[31:32], v[25:26], v[27:28]
	v_fma_f64 v[25:26], v[29:30], v[25:26], -v[0:1]
	v_fma_f64 v[0:1], -v[29:30], v[23:24], v[2:3]
	v_fma_f64 v[2:3], v[31:32], v[23:24], v[6:7]
	v_fma_f64 v[6:7], v[29:30], v[23:24], v[8:9]
	;; [unrolled: 1-line block ×3, first 2 shown]
	v_add_co_u32 v23, s0, 0x2800, v4
	v_add_co_ci_u32_e64 v24, s0, 0, v5, s0
	ds_write_b128 v162, v[0:3] offset:5760
	ds_write_b128 v10, v[6:9] offset:37440
	ds_read_b128 v[0:3], v162 offset:7200
	ds_read_b128 v[6:9], v10 offset:36000
	global_load_dwordx4 v[23:26], v[23:24], off offset:1280
	s_waitcnt lgkmcnt(0)
	v_add_f64 v[27:28], v[0:1], v[6:7]
	v_add_f64 v[29:30], v[8:9], v[2:3]
	v_add_f64 v[31:32], v[0:1], -v[6:7]
	v_add_f64 v[0:1], v[2:3], -v[8:9]
	s_waitcnt vmcnt(3)
	v_fma_f64 v[2:3], v[31:32], v[21:22], v[27:28]
	v_fma_f64 v[6:7], v[29:30], v[21:22], v[0:1]
	v_fma_f64 v[8:9], -v[31:32], v[21:22], v[27:28]
	v_fma_f64 v[21:22], v[29:30], v[21:22], -v[0:1]
	v_fma_f64 v[0:1], -v[29:30], v[19:20], v[2:3]
	v_fma_f64 v[2:3], v[31:32], v[19:20], v[6:7]
	v_fma_f64 v[6:7], v[29:30], v[19:20], v[8:9]
	;; [unrolled: 1-line block ×3, first 2 shown]
	v_add_co_u32 v19, s0, 0x3000, v4
	v_add_co_ci_u32_e64 v20, s0, 0, v5, s0
	ds_write_b128 v162, v[0:3] offset:7200
	ds_write_b128 v10, v[6:9] offset:36000
	ds_read_b128 v[0:3], v162 offset:8640
	ds_read_b128 v[6:9], v10 offset:34560
	global_load_dwordx4 v[19:22], v[19:20], off offset:672
	s_waitcnt lgkmcnt(0)
	v_add_f64 v[27:28], v[0:1], v[6:7]
	v_add_f64 v[29:30], v[8:9], v[2:3]
	v_add_f64 v[31:32], v[0:1], -v[6:7]
	v_add_f64 v[0:1], v[2:3], -v[8:9]
	s_waitcnt vmcnt(3)
	v_fma_f64 v[2:3], v[31:32], v[13:14], v[27:28]
	v_fma_f64 v[6:7], v[29:30], v[13:14], v[0:1]
	v_fma_f64 v[8:9], -v[31:32], v[13:14], v[27:28]
	v_fma_f64 v[13:14], v[29:30], v[13:14], -v[0:1]
	v_add_co_u32 v27, s0, 0x3800, v4
	v_add_co_ci_u32_e64 v28, s0, 0, v5, s0
	v_fma_f64 v[0:1], -v[29:30], v[11:12], v[2:3]
	v_fma_f64 v[2:3], v[31:32], v[11:12], v[6:7]
	v_fma_f64 v[6:7], v[29:30], v[11:12], v[8:9]
	;; [unrolled: 1-line block ×3, first 2 shown]
	ds_write_b128 v162, v[0:3] offset:8640
	ds_write_b128 v10, v[6:9] offset:34560
	ds_read_b128 v[0:3], v162 offset:10080
	ds_read_b128 v[6:9], v10 offset:33120
	global_load_dwordx4 v[11:14], v[27:28], off offset:64
	s_waitcnt lgkmcnt(0)
	v_add_f64 v[29:30], v[0:1], v[6:7]
	v_add_f64 v[31:32], v[8:9], v[2:3]
	v_add_f64 v[33:34], v[0:1], -v[6:7]
	v_add_f64 v[0:1], v[2:3], -v[8:9]
	s_waitcnt vmcnt(3)
	v_fma_f64 v[2:3], v[33:34], v[17:18], v[29:30]
	v_fma_f64 v[6:7], v[31:32], v[17:18], v[0:1]
	v_fma_f64 v[8:9], -v[33:34], v[17:18], v[29:30]
	v_fma_f64 v[17:18], v[31:32], v[17:18], -v[0:1]
	v_fma_f64 v[0:1], -v[31:32], v[15:16], v[2:3]
	v_fma_f64 v[2:3], v[33:34], v[15:16], v[6:7]
	v_fma_f64 v[6:7], v[31:32], v[15:16], v[8:9]
	;; [unrolled: 1-line block ×3, first 2 shown]
	ds_write_b128 v162, v[0:3] offset:10080
	ds_write_b128 v10, v[6:9] offset:33120
	ds_read_b128 v[0:3], v162 offset:11520
	ds_read_b128 v[6:9], v10 offset:31680
	global_load_dwordx4 v[15:18], v[27:28], off offset:1504
	s_waitcnt lgkmcnt(0)
	v_add_f64 v[27:28], v[0:1], v[6:7]
	v_add_f64 v[29:30], v[8:9], v[2:3]
	v_add_f64 v[31:32], v[0:1], -v[6:7]
	v_add_f64 v[0:1], v[2:3], -v[8:9]
	s_waitcnt vmcnt(3)
	v_fma_f64 v[2:3], v[31:32], v[25:26], v[27:28]
	v_fma_f64 v[6:7], v[29:30], v[25:26], v[0:1]
	v_fma_f64 v[8:9], -v[31:32], v[25:26], v[27:28]
	v_fma_f64 v[25:26], v[29:30], v[25:26], -v[0:1]
	v_fma_f64 v[0:1], -v[29:30], v[23:24], v[2:3]
	v_fma_f64 v[2:3], v[31:32], v[23:24], v[6:7]
	v_fma_f64 v[6:7], v[29:30], v[23:24], v[8:9]
	;; [unrolled: 1-line block ×3, first 2 shown]
	v_add_co_u32 v23, s0, 0x4000, v4
	v_add_co_ci_u32_e64 v24, s0, 0, v5, s0
	ds_write_b128 v162, v[0:3] offset:11520
	ds_write_b128 v10, v[6:9] offset:31680
	ds_read_b128 v[0:3], v162 offset:12960
	ds_read_b128 v[6:9], v10 offset:30240
	global_load_dwordx4 v[23:26], v[23:24], off offset:896
	s_waitcnt lgkmcnt(0)
	v_add_f64 v[27:28], v[0:1], v[6:7]
	v_add_f64 v[29:30], v[8:9], v[2:3]
	v_add_f64 v[31:32], v[0:1], -v[6:7]
	v_add_f64 v[0:1], v[2:3], -v[8:9]
	s_waitcnt vmcnt(3)
	v_fma_f64 v[2:3], v[31:32], v[21:22], v[27:28]
	v_fma_f64 v[6:7], v[29:30], v[21:22], v[0:1]
	v_fma_f64 v[8:9], -v[31:32], v[21:22], v[27:28]
	v_fma_f64 v[21:22], v[29:30], v[21:22], -v[0:1]
	v_add_co_u32 v27, s0, 0x4800, v4
	v_add_co_ci_u32_e64 v28, s0, 0, v5, s0
	v_cmp_gt_u32_e64 s0, 30, v60
	v_fma_f64 v[0:1], -v[29:30], v[19:20], v[2:3]
	v_fma_f64 v[2:3], v[31:32], v[19:20], v[6:7]
	v_fma_f64 v[6:7], v[29:30], v[19:20], v[8:9]
	;; [unrolled: 1-line block ×3, first 2 shown]
	ds_write_b128 v162, v[0:3] offset:12960
	ds_write_b128 v10, v[6:9] offset:30240
	ds_read_b128 v[0:3], v162 offset:14400
	ds_read_b128 v[4:7], v10 offset:28800
	global_load_dwordx4 v[19:22], v[27:28], off offset:288
	s_waitcnt lgkmcnt(0)
	v_add_f64 v[8:9], v[0:1], v[4:5]
	v_add_f64 v[29:30], v[6:7], v[2:3]
	v_add_f64 v[31:32], v[0:1], -v[4:5]
	v_add_f64 v[0:1], v[2:3], -v[6:7]
	s_waitcnt vmcnt(3)
	v_fma_f64 v[2:3], v[31:32], v[13:14], v[8:9]
	v_fma_f64 v[4:5], v[29:30], v[13:14], v[0:1]
	v_fma_f64 v[6:7], -v[31:32], v[13:14], v[8:9]
	v_fma_f64 v[8:9], v[29:30], v[13:14], -v[0:1]
	v_fma_f64 v[0:1], -v[29:30], v[11:12], v[2:3]
	v_fma_f64 v[2:3], v[31:32], v[11:12], v[4:5]
	v_fma_f64 v[4:5], v[29:30], v[11:12], v[6:7]
	;; [unrolled: 1-line block ×3, first 2 shown]
	ds_write_b128 v162, v[0:3] offset:14400
	ds_write_b128 v10, v[4:7] offset:28800
	ds_read_b128 v[0:3], v162 offset:15840
	ds_read_b128 v[4:7], v10 offset:27360
	global_load_dwordx4 v[11:14], v[27:28], off offset:1728
	s_waitcnt lgkmcnt(0)
	v_add_f64 v[8:9], v[0:1], v[4:5]
	v_add_f64 v[27:28], v[6:7], v[2:3]
	v_add_f64 v[29:30], v[0:1], -v[4:5]
	v_add_f64 v[0:1], v[2:3], -v[6:7]
	s_waitcnt vmcnt(3)
	v_fma_f64 v[2:3], v[29:30], v[17:18], v[8:9]
	v_fma_f64 v[4:5], v[27:28], v[17:18], v[0:1]
	v_fma_f64 v[6:7], -v[29:30], v[17:18], v[8:9]
	v_fma_f64 v[8:9], v[27:28], v[17:18], -v[0:1]
	v_fma_f64 v[0:1], -v[27:28], v[15:16], v[2:3]
	v_fma_f64 v[2:3], v[29:30], v[15:16], v[4:5]
	v_fma_f64 v[4:5], v[27:28], v[15:16], v[6:7]
	v_fma_f64 v[6:7], v[29:30], v[15:16], v[8:9]
	ds_write_b128 v162, v[0:3] offset:15840
	ds_write_b128 v10, v[4:7] offset:27360
	ds_read_b128 v[0:3], v162 offset:17280
	ds_read_b128 v[4:7], v10 offset:25920
	s_waitcnt lgkmcnt(0)
	v_add_f64 v[8:9], v[0:1], v[4:5]
	v_add_f64 v[15:16], v[6:7], v[2:3]
	v_add_f64 v[17:18], v[0:1], -v[4:5]
	v_add_f64 v[0:1], v[2:3], -v[6:7]
	s_waitcnt vmcnt(2)
	v_fma_f64 v[2:3], v[17:18], v[25:26], v[8:9]
	v_fma_f64 v[4:5], v[15:16], v[25:26], v[0:1]
	v_fma_f64 v[6:7], -v[17:18], v[25:26], v[8:9]
	v_fma_f64 v[8:9], v[15:16], v[25:26], -v[0:1]
	v_fma_f64 v[0:1], -v[15:16], v[23:24], v[2:3]
	v_fma_f64 v[2:3], v[17:18], v[23:24], v[4:5]
	v_fma_f64 v[4:5], v[15:16], v[23:24], v[6:7]
	v_fma_f64 v[6:7], v[17:18], v[23:24], v[8:9]
	ds_write_b128 v162, v[0:3] offset:17280
	ds_write_b128 v10, v[4:7] offset:25920
	ds_read_b128 v[0:3], v162 offset:18720
	ds_read_b128 v[4:7], v10 offset:24480
	;; [unrolled: 18-line block ×3, first 2 shown]
	s_waitcnt lgkmcnt(0)
	v_add_f64 v[8:9], v[0:1], v[4:5]
	v_add_f64 v[15:16], v[6:7], v[2:3]
	v_add_f64 v[17:18], v[0:1], -v[4:5]
	v_add_f64 v[0:1], v[2:3], -v[6:7]
	s_waitcnt vmcnt(0)
	v_fma_f64 v[2:3], v[17:18], v[13:14], v[8:9]
	v_fma_f64 v[4:5], v[15:16], v[13:14], v[0:1]
	v_fma_f64 v[6:7], -v[17:18], v[13:14], v[8:9]
	v_fma_f64 v[8:9], v[15:16], v[13:14], -v[0:1]
	v_fma_f64 v[0:1], -v[15:16], v[11:12], v[2:3]
	v_fma_f64 v[2:3], v[17:18], v[11:12], v[4:5]
	v_fma_f64 v[4:5], v[15:16], v[11:12], v[6:7]
	;; [unrolled: 1-line block ×3, first 2 shown]
	v_mad_u32_u24 v8, v60, 48, 0
	ds_write_b128 v162, v[0:3] offset:20160
	ds_write_b128 v10, v[4:7] offset:23040
	s_waitcnt lgkmcnt(0)
	s_barrier
	buffer_gl0_inv
	s_barrier
	buffer_gl0_inv
	ds_read_b128 v[0:3], v162
	ds_read_b128 v[4:7], v162 offset:14400
	ds_read_b128 v[13:16], v162 offset:28800
	;; [unrolled: 1-line block ×27, first 2 shown]
	v_add_nc_u32_e32 v9, 0x5468, v8
	v_add_nc_u32_e32 v11, 0x5478, v8
	;; [unrolled: 1-line block ×4, first 2 shown]
	s_waitcnt lgkmcnt(21)
	v_add_f64 v[128:129], v[29:30], v[17:18]
	v_add_f64 v[130:131], v[31:32], v[19:20]
	s_waitcnt lgkmcnt(19)
	v_add_f64 v[132:133], v[33:34], v[37:38]
	v_add_f64 v[134:135], v[35:36], v[39:40]
	s_waitcnt lgkmcnt(17)
	v_add_f64 v[148:149], v[17:18], v[45:46]
	v_add_f64 v[150:151], v[19:20], -v[47:48]
	v_add_f64 v[152:153], v[19:20], v[47:48]
	s_waitcnt lgkmcnt(14)
	v_add_f64 v[144:145], v[66:67], v[53:54]
	v_add_f64 v[146:147], v[68:69], v[55:56]
	v_add_f64 v[154:155], v[17:18], -v[45:46]
	v_add_f64 v[156:157], v[39:40], v[51:52]
	v_add_f64 v[158:159], v[37:38], -v[49:50]
	v_add_f64 v[57:58], v[0:1], v[4:5]
	v_add_f64 v[126:127], v[2:3], v[6:7]
	;; [unrolled: 1-line block ×3, first 2 shown]
	v_add_f64 v[142:143], v[4:5], -v[13:14]
	v_add_f64 v[138:139], v[6:7], -v[15:16]
	v_add_f64 v[140:141], v[6:7], v[15:16]
	v_add_nc_u32_e32 v163, 0x7628, v8
	v_add_nc_u32_e32 v59, 0x7638, v8
	;; [unrolled: 1-line block ×6, first 2 shown]
	v_add_f64 v[17:18], v[132:133], v[49:50]
	v_add_f64 v[19:20], v[134:135], v[51:52]
	s_waitcnt lgkmcnt(11)
	v_add_f64 v[132:133], v[53:54], -v[78:79]
	s_waitcnt lgkmcnt(5)
	v_add_f64 v[134:135], v[88:89], v[104:105]
	v_add_f64 v[4:5], v[57:58], v[13:14]
	;; [unrolled: 1-line block ×7, first 2 shown]
	v_add_f64 v[130:131], v[39:40], -v[51:52]
	v_add_f64 v[49:50], v[53:54], v[78:79]
	v_add_f64 v[51:52], v[55:56], -v[80:81]
	v_add_f64 v[55:56], v[55:56], v[80:81]
	v_add_f64 v[53:54], v[74:75], v[82:83]
	;; [unrolled: 1-line block ×5, first 2 shown]
	v_add_f64 v[74:75], v[74:75], -v[82:83]
	v_add_f64 v[39:40], v[146:147], v[80:81]
	v_add_f64 v[80:81], v[92:93], v[88:89]
	;; [unrolled: 1-line block ×3, first 2 shown]
	v_fma_f64 v[146:147], v[156:157], -0.5, v[35:36]
	s_waitcnt lgkmcnt(4)
	v_add_f64 v[35:36], v[98:99], v[106:107]
	v_add_f64 v[76:77], v[76:77], -v[84:85]
	v_add_f64 v[98:99], v[98:99], -v[106:107]
	v_add_f64 v[45:46], v[57:58], v[82:83]
	v_add_f64 v[82:83], v[86:87], v[102:103]
	;; [unrolled: 1-line block ×3, first 2 shown]
	v_add_f64 v[86:87], v[86:87], -v[102:103]
	v_fma_f64 v[128:129], v[128:129], -0.5, v[33:34]
	v_add_f64 v[33:34], v[96:97], v[100:101]
	v_fma_f64 v[66:67], v[49:50], -0.5, v[66:67]
	v_add_f64 v[49:50], v[100:101], v[108:109]
	v_fma_f64 v[55:56], v[55:56], -0.5, v[68:69]
	v_fma_f64 v[68:69], v[53:54], -0.5, v[70:71]
	s_waitcnt lgkmcnt(1)
	v_add_f64 v[53:54], v[110:111], v[118:119]
	v_add_f64 v[70:71], v[112:113], v[120:121]
	;; [unrolled: 1-line block ×3, first 2 shown]
	v_fma_f64 v[84:85], v[136:137], -0.5, v[0:1]
	v_fma_f64 v[126:127], v[140:141], -0.5, v[2:3]
	ds_read_b128 v[0:3], v162 offset:25920
	v_fma_f64 v[136:137], v[148:149], -0.5, v[29:30]
	v_fma_f64 v[140:141], v[152:153], -0.5, v[31:32]
	ds_read_b128 v[29:32], v162 offset:40320
	v_fma_f64 v[72:73], v[78:79], -0.5, v[72:73]
	v_add_f64 v[78:79], v[88:89], -v[104:105]
	s_waitcnt lgkmcnt(2)
	v_add_f64 v[88:89], v[118:119], v[122:123]
	v_add_f64 v[80:81], v[80:81], v[104:105]
	v_fma_f64 v[82:83], v[82:83], -0.5, v[90:91]
	v_fma_f64 v[90:91], v[134:135], -0.5, v[92:93]
	v_add_f64 v[92:93], v[120:121], v[124:125]
	v_add_f64 v[57:58], v[57:58], v[102:103]
	v_add_f64 v[100:101], v[100:101], -v[108:109]
	v_add_f64 v[104:105], v[144:145], v[106:107]
	v_add_f64 v[106:107], v[33:34], v[108:109]
	v_add_f64 v[108:109], v[120:121], -v[124:125]
	v_fma_f64 v[94:95], v[35:36], -0.5, v[94:95]
	v_fma_f64 v[96:97], v[49:50], -0.5, v[96:97]
	v_add_f64 v[118:119], v[118:119], -v[122:123]
	v_add_f64 v[122:123], v[53:54], v[122:123]
	s_waitcnt lgkmcnt(1)
	v_add_f64 v[102:103], v[114:115], v[0:1]
	v_add_f64 v[124:125], v[70:71], v[124:125]
	;; [unrolled: 1-line block ×3, first 2 shown]
	s_waitcnt lgkmcnt(0)
	v_add_f64 v[35:36], v[0:1], v[29:30]
	v_add_f64 v[49:50], v[2:3], v[31:32]
	;; [unrolled: 1-line block ×4, first 2 shown]
	v_add_f64 v[120:121], v[2:3], -v[31:32]
	v_add_f64 v[134:135], v[0:1], -v[29:30]
	v_add_f64 v[0:1], v[21:22], v[41:42]
	v_add_f64 v[2:3], v[23:24], v[43:44]
	v_fma_f64 v[88:89], v[88:89], -0.5, v[110:111]
	v_fma_f64 v[92:93], v[92:93], -0.5, v[112:113]
	v_add_f64 v[144:145], v[41:42], -v[25:26]
	v_fma_f64 v[41:42], v[130:131], s[20:21], v[128:129]
	s_barrier
	buffer_gl0_inv
	ds_write_b128 v8, v[4:7]
	ds_write_b128 v8, v[13:16] offset:4320
	ds_write_b128 v8, v[17:20] offset:8640
	;; [unrolled: 1-line block ×4, first 2 shown]
	ds_write_b64 v8, v[57:58] offset:21600
	v_fma_f64 v[4:5], v[78:79], s[12:13], v[82:83]
	v_fma_f64 v[6:7], v[78:79], s[20:21], v[82:83]
	;; [unrolled: 1-line block ×3, first 2 shown]
	v_add_f64 v[102:103], v[102:103], v[29:30]
	v_mul_u32_u24_sdwa v29, v172, v165 dst_sel:DWORD dst_unused:UNUSED_PAD src0_sel:BYTE_0 src1_sel:DWORD
	v_fma_f64 v[156:157], v[53:54], -0.5, v[21:22]
	v_fma_f64 v[112:113], v[35:36], -0.5, v[114:115]
	;; [unrolled: 1-line block ×3, first 2 shown]
	v_add_f64 v[116:117], v[43:44], -v[27:28]
	v_fma_f64 v[160:161], v[70:71], -0.5, v[23:24]
	v_fma_f64 v[21:22], v[138:139], s[20:21], v[84:85]
	v_fma_f64 v[23:24], v[142:143], s[12:13], v[126:127]
	v_add_f64 v[148:149], v[0:1], v[25:26]
	v_add_f64 v[152:153], v[2:3], v[27:28]
	v_fma_f64 v[0:1], v[138:139], s[12:13], v[84:85]
	v_fma_f64 v[2:3], v[142:143], s[20:21], v[126:127]
	;; [unrolled: 1-line block ×4, first 2 shown]
	v_add_f64 v[110:111], v[33:34], v[31:32]
	v_lshlrev_b32_e32 v170, 4, v29
	v_fma_f64 v[29:30], v[150:151], s[20:21], v[136:137]
	v_fma_f64 v[31:32], v[154:155], s[12:13], v[140:141]
	;; [unrolled: 1-line block ×30, first 2 shown]
	ds_write_b64 v8, v[104:105] offset:25920
	ds_write_b128 v8, v[0:3] offset:16
	ds_write_b128 v8, v[21:24] offset:32
	;; [unrolled: 1-line block ×10, first 2 shown]
	ds_write2_b64 v9, v[80:81], v[4:5] offset1:1
	ds_write2_b64 v11, v[13:14], v[6:7] offset1:1
	ds_write_b64 v8, v[15:16] offset:21640
	ds_write2_b64 v12, v[106:107], v[17:18] offset1:1
	ds_write2_b64 v10, v[37:38], v[19:20] offset1:1
	ds_write_b64 v8, v[39:40] offset:25960
	ds_write_b64 v8, v[122:123] offset:30240
	ds_write2_b64 v163, v[124:125], v[45:46] offset1:1
	ds_write2_b64 v59, v[57:58], v[47:48] offset1:1
	ds_write_b64 v8, v[74:75] offset:30280
	ds_write_b64 v8, v[102:103] offset:34560
	ds_write2_b64 v164, v[110:111], v[76:77] offset1:1
	ds_write2_b64 v166, v[82:83], v[78:79] offset1:1
	ds_write_b64 v8, v[84:85] offset:34600
	ds_write_b64 v8, v[148:149] offset:38880
	ds_write2_b64 v168, v[152:153], v[86:87] offset1:1
	ds_write2_b64 v169, v[90:91], v[88:89] offset1:1
	ds_write_b64 v8, v[92:93] offset:38920
	s_waitcnt lgkmcnt(0)
	s_barrier
	buffer_gl0_inv
	s_clause 0x7
	global_load_dwordx4 v[0:3], v170, s[16:17]
	global_load_dwordx4 v[4:7], v170, s[16:17] offset:16
	global_load_dwordx4 v[8:11], v170, s[16:17] offset:32
	global_load_dwordx4 v[12:15], v170, s[16:17] offset:48
	global_load_dwordx4 v[16:19], v170, s[16:17] offset:64
	global_load_dwordx4 v[20:23], v170, s[16:17] offset:80
	global_load_dwordx4 v[28:31], v170, s[16:17] offset:96
	global_load_dwordx4 v[32:35], v170, s[16:17] offset:112
	v_add_nc_u32_e32 v163, 0x5a, v60
	global_load_dwordx4 v[42:45], v170, s[16:17] offset:128
	v_add_nc_u32_e32 v164, 0xb4, v60
	v_mov_b32_e32 v25, 0xaaab
	v_and_b32_e32 v166, 0xff, v163
	v_mul_u32_u24_sdwa v25, v164, v25 dst_sel:DWORD dst_unused:UNUSED_PAD src0_sel:WORD_0 src1_sel:DWORD
	v_mul_lo_u16 v24, 0xab, v166
	v_lshrrev_b32_e32 v171, 17, v25
	v_lshrrev_b16 v169, 9, v24
	v_mul_lo_u16 v25, v171, 3
	v_mul_lo_u16 v24, v169, 3
	v_sub_nc_u16 v170, v164, v25
	v_sub_nc_u16 v168, v163, v24
	v_mul_u32_u24_sdwa v24, v168, v165 dst_sel:DWORD dst_unused:UNUSED_PAD src0_sel:BYTE_0 src1_sel:DWORD
	v_lshlrev_b32_e32 v24, 4, v24
	s_clause 0x8
	global_load_dwordx4 v[54:57], v24, s[16:17]
	global_load_dwordx4 v[86:89], v24, s[16:17] offset:16
	global_load_dwordx4 v[90:93], v24, s[16:17] offset:32
	;; [unrolled: 1-line block ×8, first 2 shown]
	v_mul_u32_u24_sdwa v24, v170, v165 dst_sel:DWORD dst_unused:UNUSED_PAD src0_sel:WORD_0 src1_sel:DWORD
	v_lshlrev_b32_e32 v52, 4, v24
	s_clause 0x6
	global_load_dwordx4 v[142:145], v52, s[16:17]
	global_load_dwordx4 v[148:151], v52, s[16:17] offset:16
	global_load_dwordx4 v[152:155], v52, s[16:17] offset:32
	;; [unrolled: 1-line block ×6, first 2 shown]
	ds_read_b128 v[24:27], v162 offset:4320
	ds_read_b128 v[36:39], v162 offset:8640
	global_load_dwordx4 v[185:188], v52, s[16:17] offset:112
	ds_read_b128 v[46:49], v162 offset:12960
	ds_read_b128 v[70:73], v162 offset:17280
	global_load_dwordx4 v[189:192], v52, s[16:17] offset:128
	s_waitcnt vmcnt(26) lgkmcnt(3)
	v_mul_f64 v[40:41], v[26:27], v[2:3]
	v_mul_f64 v[2:3], v[24:25], v[2:3]
	s_waitcnt vmcnt(25) lgkmcnt(2)
	v_mul_f64 v[50:51], v[38:39], v[6:7]
	v_mul_f64 v[6:7], v[36:37], v[6:7]
	;; [unrolled: 3-line block ×3, first 2 shown]
	v_fma_f64 v[24:25], v[24:25], v[0:1], -v[40:41]
	v_fma_f64 v[26:27], v[26:27], v[0:1], v[2:3]
	ds_read_b128 v[0:3], v162 offset:21600
	v_mul_f64 v[40:41], v[48:49], v[10:11]
	v_mul_f64 v[10:11], v[46:47], v[10:11]
	v_fma_f64 v[68:69], v[36:37], v[4:5], -v[50:51]
	v_fma_f64 v[52:53], v[38:39], v[4:5], v[6:7]
	ds_read_b128 v[4:7], v162 offset:25920
	v_fma_f64 v[78:79], v[70:71], v[12:13], -v[58:59]
	v_fma_f64 v[74:75], v[72:73], v[12:13], v[14:15]
	ds_read_b128 v[12:15], v162 offset:34560
	s_waitcnt vmcnt(22) lgkmcnt(2)
	v_mul_f64 v[38:39], v[2:3], v[18:19]
	v_mul_f64 v[18:19], v[0:1], v[18:19]
	v_fma_f64 v[40:41], v[46:47], v[8:9], -v[40:41]
	v_fma_f64 v[36:37], v[48:49], v[8:9], v[10:11]
	ds_read_b128 v[8:11], v162 offset:30240
	s_waitcnt vmcnt(21) lgkmcnt(2)
	v_mul_f64 v[46:47], v[6:7], v[22:23]
	v_mul_f64 v[22:23], v[4:5], v[22:23]
	;; [unrolled: 6-line block ×3, first 2 shown]
	s_waitcnt vmcnt(19)
	v_mul_f64 v[30:31], v[14:15], v[34:35]
	v_fma_f64 v[96:97], v[4:5], v[20:21], -v[46:47]
	v_fma_f64 v[84:85], v[6:7], v[20:21], v[22:23]
	v_mul_f64 v[20:21], v[12:13], v[34:35]
	ds_read_b128 v[4:7], v162 offset:5760
	s_waitcnt vmcnt(18) lgkmcnt(1)
	v_mul_f64 v[22:23], v[2:3], v[44:45]
	v_fma_f64 v[80:81], v[8:9], v[28:29], -v[16:17]
	v_mul_f64 v[16:17], v[0:1], v[44:45]
	v_fma_f64 v[72:73], v[10:11], v[28:29], v[18:19]
	ds_read_b128 v[8:11], v162 offset:10080
	s_waitcnt vmcnt(17) lgkmcnt(1)
	v_mul_f64 v[18:19], v[6:7], v[56:57]
	v_fma_f64 v[120:121], v[12:13], v[32:33], -v[30:31]
	v_fma_f64 v[110:111], v[14:15], v[32:33], v[20:21]
	ds_read_b128 v[12:15], v162 offset:14400
	v_mul_f64 v[20:21], v[4:5], v[56:57]
	v_fma_f64 v[98:99], v[0:1], v[42:43], -v[22:23]
	v_fma_f64 v[82:83], v[2:3], v[42:43], v[16:17]
	ds_read_b128 v[0:3], v162 offset:18720
	s_waitcnt vmcnt(16) lgkmcnt(2)
	v_mul_f64 v[16:17], v[10:11], v[88:89]
	v_mul_f64 v[22:23], v[8:9], v[88:89]
	v_fma_f64 v[28:29], v[4:5], v[54:55], -v[18:19]
	s_waitcnt vmcnt(15) lgkmcnt(1)
	v_mul_f64 v[18:19], v[12:13], v[92:93]
	v_mul_f64 v[32:33], v[14:15], v[92:93]
	v_fma_f64 v[30:31], v[6:7], v[54:55], v[20:21]
	ds_read_b128 v[4:7], v162 offset:23040
	s_waitcnt vmcnt(14) lgkmcnt(1)
	v_mul_f64 v[20:21], v[2:3], v[104:105]
	v_add_f64 v[193:194], v[36:37], -v[82:83]
	v_add_f64 v[195:196], v[82:83], -v[72:73]
	v_fma_f64 v[100:101], v[8:9], v[86:87], -v[16:17]
	v_mul_f64 v[16:17], v[0:1], v[104:105]
	v_fma_f64 v[86:87], v[10:11], v[86:87], v[22:23]
	ds_read_b128 v[8:11], v162 offset:27360
	v_fma_f64 v[66:67], v[14:15], v[90:91], v[18:19]
	s_waitcnt vmcnt(13) lgkmcnt(1)
	v_mul_f64 v[18:19], v[6:7], v[114:115]
	v_mul_f64 v[22:23], v[4:5], v[114:115]
	v_fma_f64 v[76:77], v[12:13], v[90:91], -v[32:33]
	ds_read_b128 v[12:15], v162 offset:31680
	v_fma_f64 v[118:119], v[0:1], v[102:103], -v[20:21]
	v_fma_f64 v[108:109], v[2:3], v[102:103], v[16:17]
	s_waitcnt vmcnt(12) lgkmcnt(1)
	v_mul_f64 v[16:17], v[10:11], v[124:125]
	ds_read_b128 v[0:3], v162 offset:36000
	v_mul_f64 v[20:21], v[8:9], v[124:125]
	v_fma_f64 v[106:107], v[4:5], v[112:113], -v[18:19]
	s_waitcnt vmcnt(11) lgkmcnt(1)
	v_mul_f64 v[32:33], v[14:15], v[130:131]
	v_fma_f64 v[88:89], v[6:7], v[112:113], v[22:23]
	ds_read_b128 v[4:7], v162 offset:40320
	v_mul_f64 v[18:19], v[12:13], v[130:131]
	s_waitcnt vmcnt(10) lgkmcnt(1)
	v_mul_f64 v[22:23], v[2:3], v[136:137]
	v_fma_f64 v[132:133], v[8:9], v[122:123], -v[16:17]
	v_mul_f64 v[16:17], v[0:1], v[136:137]
	v_fma_f64 v[126:127], v[10:11], v[122:123], v[20:21]
	ds_read_b128 v[8:11], v162 offset:7200
	v_fma_f64 v[116:117], v[12:13], v[128:129], -v[32:33]
	s_waitcnt vmcnt(9) lgkmcnt(1)
	v_mul_f64 v[20:21], v[4:5], v[140:141]
	v_fma_f64 v[102:103], v[14:15], v[128:129], v[18:19]
	ds_read_b128 v[12:15], v162 offset:11520
	v_mul_f64 v[18:19], v[6:7], v[140:141]
	v_fma_f64 v[146:147], v[0:1], v[134:135], -v[22:23]
	v_add_f64 v[42:43], v[118:119], v[132:133]
	v_fma_f64 v[140:141], v[2:3], v[134:135], v[16:17]
	s_waitcnt vmcnt(8) lgkmcnt(1)
	v_mul_f64 v[16:17], v[10:11], v[144:145]
	ds_read_b128 v[0:3], v162 offset:15840
	v_mul_f64 v[22:23], v[8:9], v[144:145]
	v_fma_f64 v[122:123], v[6:7], v[138:139], v[20:21]
	s_waitcnt vmcnt(7) lgkmcnt(1)
	v_mul_f64 v[38:39], v[14:15], v[150:151]
	v_add_f64 v[205:206], v[106:107], v[116:117]
	v_add_f64 v[207:208], v[106:107], -v[116:117]
	v_fma_f64 v[134:135], v[4:5], v[138:139], -v[18:19]
	ds_read_b128 v[4:7], v162 offset:20160
	v_mul_f64 v[18:19], v[12:13], v[150:151]
	v_add_f64 v[213:214], v[88:89], v[102:103]
	v_add_f64 v[215:216], v[88:89], -v[102:103]
	v_add_f64 v[197:198], v[100:101], -v[146:147]
	;; [unrolled: 1-line block ×3, first 2 shown]
	s_waitcnt vmcnt(6) lgkmcnt(1)
	v_mul_f64 v[20:21], v[2:3], v[154:155]
	v_fma_f64 v[32:33], v[8:9], v[142:143], -v[16:17]
	v_mul_f64 v[16:17], v[0:1], v[154:155]
	v_fma_f64 v[34:35], v[10:11], v[142:143], v[22:23]
	ds_read_b128 v[8:11], v162 offset:24480
	v_fma_f64 v[130:131], v[12:13], v[148:149], -v[38:39]
	v_add_f64 v[201:202], v[86:87], -v[140:141]
	s_waitcnt vmcnt(5) lgkmcnt(1)
	v_mul_f64 v[22:23], v[4:5], v[158:159]
	v_add_f64 v[203:204], v[140:141], -v[126:127]
	v_add_f64 v[209:210], v[76:77], -v[134:135]
	v_fma_f64 v[124:125], v[14:15], v[148:149], v[18:19]
	ds_read_b128 v[12:15], v162 offset:28800
	v_mul_f64 v[18:19], v[6:7], v[158:159]
	v_add_f64 v[211:212], v[134:135], -v[116:117]
	v_add_f64 v[219:220], v[122:123], -v[102:103]
	;; [unrolled: 1-line block ×3, first 2 shown]
	v_fma_f64 v[112:113], v[0:1], v[152:153], -v[20:21]
	v_fma_f64 v[92:93], v[2:3], v[152:153], v[16:17]
	s_waitcnt vmcnt(4) lgkmcnt(1)
	v_mul_f64 v[16:17], v[10:11], v[175:176]
	v_mul_f64 v[20:21], v[8:9], v[175:176]
	ds_read_b128 v[0:3], v162 offset:33120
	v_fma_f64 v[142:143], v[6:7], v[156:157], v[22:23]
	s_waitcnt vmcnt(3) lgkmcnt(1)
	v_mul_f64 v[38:39], v[14:15], v[179:180]
	v_fma_f64 v[148:149], v[4:5], v[156:157], -v[18:19]
	v_mul_f64 v[18:19], v[12:13], v[179:180]
	ds_read_b128 v[4:7], v162
	v_add_f64 v[179:180], v[74:75], -v[84:85]
	v_fma_f64 v[138:139], v[8:9], v[173:174], -v[16:17]
	v_fma_f64 v[128:129], v[10:11], v[173:174], v[20:21]
	ds_read_b128 v[8:11], v162 offset:37440
	s_waitcnt vmcnt(2) lgkmcnt(2)
	v_mul_f64 v[22:23], v[2:3], v[183:184]
	v_mul_f64 v[16:17], v[0:1], v[183:184]
	v_add_f64 v[20:21], v[26:27], v[36:37]
	v_fma_f64 v[152:153], v[12:13], v[177:178], -v[38:39]
	v_add_f64 v[183:184], v[70:71], -v[80:81]
	v_fma_f64 v[150:151], v[14:15], v[177:178], v[18:19]
	v_add_f64 v[18:19], v[24:25], v[40:41]
	v_add_f64 v[177:178], v[52:53], -v[110:111]
	v_fma_f64 v[144:145], v[0:1], v[181:182], -v[22:23]
	v_fma_f64 v[136:137], v[2:3], v[181:182], v[16:17]
	ds_read_b128 v[0:3], v162 offset:41760
	s_waitcnt lgkmcnt(2)
	v_add_f64 v[12:13], v[4:5], v[68:69]
	v_add_f64 v[14:15], v[6:7], v[52:53]
	s_waitcnt vmcnt(1) lgkmcnt(1)
	v_mul_f64 v[16:17], v[10:11], v[187:188]
	v_mul_f64 v[22:23], v[8:9], v[187:188]
	v_add_f64 v[20:21], v[20:21], v[48:49]
	v_add_f64 v[18:19], v[18:19], v[70:71]
	;; [unrolled: 1-line block ×3, first 2 shown]
	v_add_f64 v[187:188], v[98:99], -v[80:81]
	s_waitcnt vmcnt(0) lgkmcnt(0)
	v_mul_f64 v[38:39], v[2:3], v[191:192]
	v_add_f64 v[229:230], v[138:139], v[144:145]
	v_add_f64 v[231:232], v[138:139], -v[144:145]
	v_add_f64 v[12:13], v[12:13], v[78:79]
	v_add_f64 v[14:15], v[14:15], v[74:75]
	v_fma_f64 v[160:161], v[8:9], v[185:186], -v[16:17]
	v_mul_f64 v[8:9], v[0:1], v[191:192]
	v_fma_f64 v[158:159], v[10:11], v[185:186], v[22:23]
	v_add_f64 v[16:17], v[20:21], v[72:73]
	v_add_f64 v[20:21], v[74:75], v[84:85]
	;; [unrolled: 1-line block ×3, first 2 shown]
	v_add_f64 v[185:186], v[40:41], -v[98:99]
	v_add_f64 v[191:192], v[48:49], -v[72:73]
	v_add_f64 v[237:238], v[128:129], v[136:137]
	v_add_f64 v[239:240], v[128:129], -v[136:137]
	v_fma_f64 v[156:157], v[0:1], v[189:190], -v[38:39]
	v_add_f64 v[10:11], v[12:13], v[96:97]
	v_add_f64 v[12:13], v[14:15], v[84:85]
	;; [unrolled: 1-line block ×3, first 2 shown]
	v_fma_f64 v[154:155], v[2:3], v[189:190], v[8:9]
	v_add_f64 v[8:9], v[78:79], v[96:97]
	v_add_f64 v[18:19], v[68:69], v[120:121]
	ds_read_b128 v[0:3], v162 offset:1440
	v_fma_f64 v[90:91], v[20:21], -0.5, v[6:7]
	v_fma_f64 v[94:95], v[22:23], -0.5, v[6:7]
	v_add_f64 v[6:7], v[108:109], v[126:127]
	v_add_f64 v[38:39], v[16:17], v[82:83]
	v_add_f64 v[80:81], v[80:81], -v[98:99]
	v_add_f64 v[189:190], v[48:49], v[72:73]
	v_add_f64 v[72:73], v[72:73], -v[82:83]
	v_add_f64 v[221:222], v[130:131], -v[160:161]
	;; [unrolled: 1-line block ×7, first 2 shown]
	v_add_f64 v[10:11], v[10:11], v[120:121]
	v_add_f64 v[12:13], v[12:13], v[110:111]
	v_add_f64 v[14:15], v[14:15], v[98:99]
	v_add_f64 v[243:244], v[154:155], -v[136:137]
	v_fma_f64 v[104:105], v[8:9], -0.5, v[4:5]
	v_fma_f64 v[114:115], v[18:19], -0.5, v[4:5]
	v_add_f64 v[4:5], v[100:101], v[146:147]
	s_waitcnt lgkmcnt(0)
	v_fma_f64 v[54:55], v[42:43], -0.5, v[0:1]
	v_add_f64 v[241:242], v[92:93], -v[154:155]
	v_fma_f64 v[44:45], v[6:7], -0.5, v[2:3]
	v_add_f64 v[6:7], v[30:31], v[66:67]
	v_add_f64 v[22:23], v[12:13], v[38:39]
	;; [unrolled: 1-line block ×3, first 2 shown]
	v_add_f64 v[16:17], v[10:11], -v[14:15]
	v_add_f64 v[18:19], v[12:13], -v[38:39]
	v_add_f64 v[12:13], v[148:149], v[152:153]
	v_fma_f64 v[58:59], v[4:5], -0.5, v[0:1]
	v_add_f64 v[4:5], v[86:87], v[140:141]
	v_add_f64 v[0:1], v[0:1], v[100:101]
	;; [unrolled: 1-line block ×4, first 2 shown]
	v_fma_f64 v[56:57], v[4:5], -0.5, v[2:3]
	v_add_f64 v[2:3], v[2:3], v[86:87]
	v_add_f64 v[4:5], v[28:29], v[76:77]
	;; [unrolled: 1-line block ×5, first 2 shown]
	v_add_f64 v[102:103], v[102:103], -v[122:123]
	v_add_f64 v[2:3], v[2:3], v[108:109]
	v_add_f64 v[4:5], v[4:5], v[106:107]
	;; [unrolled: 1-line block ×5, first 2 shown]
	v_add_f64 v[136:137], v[136:137], -v[154:155]
	v_add_f64 v[2:3], v[2:3], v[126:127]
	v_add_f64 v[4:5], v[4:5], v[116:117]
	;; [unrolled: 1-line block ×3, first 2 shown]
	v_add_f64 v[116:117], v[116:117], -v[134:135]
	v_add_f64 v[175:176], v[14:15], v[154:155]
	v_add_f64 v[2:3], v[2:3], v[140:141]
	;; [unrolled: 1-line block ×5, first 2 shown]
	v_add_f64 v[0:1], v[0:1], -v[8:9]
	v_add_f64 v[2:3], v[2:3], -v[10:11]
	ds_read_b128 v[8:11], v162 offset:2880
	s_waitcnt lgkmcnt(0)
	s_barrier
	buffer_gl0_inv
	v_fma_f64 v[42:43], v[12:13], -0.5, v[8:9]
	v_add_f64 v[12:13], v[130:131], v[160:161]
	v_fma_f64 v[50:51], v[12:13], -0.5, v[8:9]
	v_add_f64 v[12:13], v[142:143], v[150:151]
	v_add_f64 v[8:9], v[8:9], v[130:131]
	v_fma_f64 v[38:39], v[12:13], -0.5, v[10:11]
	v_add_f64 v[12:13], v[124:125], v[158:159]
	;; [unrolled: 3-line block ×3, first 2 shown]
	v_add_f64 v[10:11], v[10:11], v[124:125]
	v_add_f64 v[8:9], v[8:9], v[152:153]
	;; [unrolled: 1-line block ×7, first 2 shown]
	v_add_f64 v[144:145], v[144:145], -v[156:157]
	v_add_f64 v[173:174], v[12:13], v[156:157]
	v_add_f64 v[10:11], v[10:11], v[158:159]
	;; [unrolled: 1-line block ×3, first 2 shown]
	v_add_f64 v[8:9], v[8:9], -v[173:174]
	v_mov_b32_e32 v174, 0x1e0
	v_add_f64 v[14:15], v[10:11], v[175:176]
	v_add_f64 v[10:11], v[10:11], -v[175:176]
	v_add_f64 v[175:176], v[78:79], -v[96:97]
	v_mul_u32_u24_sdwa v173, v61, v174 dst_sel:DWORD dst_unused:UNUSED_PAD src0_sel:WORD_0 src1_sel:DWORD
	v_mov_b32_e32 v61, 4
	v_lshlrev_b32_sdwa v172, v61, v172 dst_sel:DWORD dst_unused:UNUSED_PAD src0_sel:DWORD src1_sel:BYTE_0
	v_add3_u32 v173, 0, v173, v172
	ds_write_b128 v173, v[20:23]
	v_add_f64 v[20:21], v[68:69], -v[78:79]
	v_add_f64 v[22:23], v[68:69], -v[120:121]
	;; [unrolled: 1-line block ×11, first 2 shown]
	v_add_f64 v[40:41], v[40:41], v[98:99]
	v_add_f64 v[98:99], v[36:37], -v[48:49]
	v_add_f64 v[48:49], v[48:49], -v[36:37]
	v_add_f64 v[36:37], v[36:37], v[82:83]
	v_add_f64 v[82:83], v[100:101], -v[118:119]
	v_add_f64 v[100:101], v[118:119], -v[100:101]
	;; [unrolled: 1-line block ×10, first 2 shown]
	v_add_f64 v[76:77], v[76:77], v[134:135]
	v_add_f64 v[134:135], v[66:67], -v[88:89]
	v_add_f64 v[88:89], v[88:89], -v[66:67]
	v_add_f64 v[66:67], v[66:67], v[122:123]
	v_add_f64 v[122:123], v[130:131], -v[148:149]
	v_add_f64 v[52:53], v[52:53], v[84:85]
	v_fma_f64 v[84:85], v[181:182], -0.5, v[24:25]
	v_add_f64 v[130:131], v[148:149], -v[130:131]
	v_add_f64 v[148:149], v[148:149], -v[152:153]
	v_add_f64 v[152:153], v[152:153], -v[160:161]
	v_add_f64 v[160:161], v[124:125], -v[142:143]
	v_add_f64 v[124:125], v[142:143], -v[124:125]
	v_add_f64 v[181:182], v[82:83], v[199:200]
	v_add_f64 v[142:143], v[142:143], -v[150:151]
	v_add_f64 v[150:151], v[150:151], -v[158:159]
	;; [unrolled: 1-line block ×4, first 2 shown]
	v_add_f64 v[112:113], v[112:113], v[156:157]
	v_add_f64 v[156:157], v[92:93], -v[128:129]
	v_add_f64 v[128:129], v[128:129], -v[92:93]
	v_add_f64 v[98:99], v[98:99], v[195:196]
	v_fma_f64 v[24:25], v[40:41], -0.5, v[24:25]
	v_add_f64 v[86:87], v[86:87], v[126:127]
	v_add_f64 v[195:196], v[106:107], v[116:117]
	;; [unrolled: 1-line block ×3, first 2 shown]
	v_fma_f64 v[102:103], v[179:180], s[6:7], v[114:115]
	v_fma_f64 v[106:107], v[179:180], s[8:9], v[114:115]
	v_add_f64 v[92:93], v[92:93], v[154:155]
	v_add_f64 v[154:155], v[20:21], v[78:79]
	v_fma_f64 v[20:21], v[189:190], -0.5, v[26:27]
	v_fma_f64 v[26:27], v[36:37], -0.5, v[26:27]
	v_add_f64 v[189:190], v[100:101], v[132:133]
	v_fma_f64 v[100:101], v[205:206], -0.5, v[28:29]
	v_fma_f64 v[28:29], v[76:77], -0.5, v[28:29]
	;; [unrolled: 1-line block ×3, first 2 shown]
	v_add_f64 v[40:41], v[70:71], v[80:81]
	v_add_f64 v[76:77], v[124:125], v[150:151]
	;; [unrolled: 1-line block ×9, first 2 shown]
	v_fma_f64 v[96:97], v[213:214], -0.5, v[30:31]
	v_fma_f64 v[30:31], v[66:67], -0.5, v[30:31]
	v_add_f64 v[187:188], v[110:111], v[187:188]
	v_fma_f64 v[126:127], v[177:178], s[2:3], v[102:103]
	v_fma_f64 v[102:103], v[175:176], s[8:9], v[94:95]
	;; [unrolled: 1-line block ×6, first 2 shown]
	v_fma_f64 v[34:35], v[92:93], -0.5, v[34:35]
	v_fma_f64 v[92:93], v[229:230], -0.5, v[32:33]
	;; [unrolled: 1-line block ×3, first 2 shown]
	v_fma_f64 v[112:113], v[185:186], s[6:7], v[20:21]
	v_fma_f64 v[20:21], v[185:186], s[8:9], v[20:21]
	v_add_f64 v[146:147], v[146:147], v[203:204]
	v_fma_f64 v[110:111], v[177:178], s[8:9], v[104:105]
	v_fma_f64 v[104:105], v[177:178], s[6:7], v[104:105]
	v_add_f64 v[140:141], v[140:141], v[211:212]
	v_add_f64 v[66:67], v[160:161], v[227:228]
	;; [unrolled: 1-line block ×5, first 2 shown]
	ds_write_b128 v173, v[16:19] offset:240
	v_fma_f64 v[144:145], v[22:23], s[4:5], v[102:103]
	v_fma_f64 v[22:23], v[22:23], s[2:3], v[94:95]
	;; [unrolled: 1-line block ×42, first 2 shown]
	v_mul_u32_u24_e32 v159, 0x1e0, v171
	v_mul_u32_u24_sdwa v158, v169, v174 dst_sel:DWORD dst_unused:UNUSED_PAD src0_sel:WORD_0 src1_sel:DWORD
	v_fma_f64 v[203:204], v[217:218], s[2:3], v[20:21]
	v_fma_f64 v[205:206], v[217:218], s[4:5], v[24:25]
	;; [unrolled: 1-line block ×18, first 2 shown]
	v_lshlrev_b32_sdwa v160, v61, v170 dst_sel:DWORD dst_unused:UNUSED_PAD src0_sel:DWORD src1_sel:WORD_0
	v_mov_b32_e32 v170, 0x12c0
	v_fma_f64 v[211:212], v[209:210], s[4:5], v[20:21]
	v_fma_f64 v[209:210], v[209:210], s[2:3], v[24:25]
	;; [unrolled: 1-line block ×23, first 2 shown]
	v_mul_f64 v[146:147], v[84:85], s[10:11]
	v_mul_f64 v[148:149], v[96:97], s[22:23]
	v_fma_f64 v[30:31], v[189:190], s[10:11], v[191:192]
	v_fma_f64 v[38:39], v[181:182], s[10:11], v[219:220]
	;; [unrolled: 1-line block ×12, first 2 shown]
	v_mul_f64 v[136:137], v[126:127], s[4:5]
	v_mul_f64 v[150:151], v[142:143], s[2:3]
	v_fma_f64 v[66:67], v[66:67], s[10:11], v[116:117]
	v_fma_f64 v[46:47], v[181:182], s[10:11], v[217:218]
	;; [unrolled: 1-line block ×3, first 2 shown]
	v_mul_f64 v[110:111], v[90:91], s[8:9]
	v_fma_f64 v[124:125], v[241:242], s[2:3], v[20:21]
	v_fma_f64 v[112:113], v[241:242], s[4:5], v[24:25]
	;; [unrolled: 1-line block ×10, first 2 shown]
	v_mul_f64 v[156:157], v[92:93], s[6:7]
	v_mul_f64 v[144:145], v[58:59], s[10:11]
	v_fma_f64 v[76:77], v[76:77], s[10:11], v[104:105]
	v_fma_f64 v[40:41], v[245:246], s[10:11], v[175:176]
	;; [unrolled: 1-line block ×9, first 2 shown]
	v_mul_lo_u16 v140, 0x89, v167
	v_fma_f64 v[122:123], v[233:234], s[2:3], v[24:25]
	v_fma_f64 v[24:25], v[52:53], s[10:11], v[22:23]
	;; [unrolled: 1-line block ×4, first 2 shown]
	v_lshrrev_b16 v172, 12, v140
	v_fma_f64 v[86:87], v[199:200], s[10:11], v[209:210]
	v_fma_f64 v[132:133], v[72:73], s[10:11], v[132:133]
	;; [unrolled: 1-line block ×4, first 2 shown]
	v_mul_lo_u16 v140, v172, 30
	v_mul_f64 v[154:155], v[94:95], s[8:9]
	v_fma_f64 v[84:85], v[84:85], s[8:9], -v[144:145]
	v_fma_f64 v[22:23], v[189:190], s[10:11], v[193:194]
	v_sub_nc_u16 v171, v60, v140
	v_fma_f64 v[140:141], v[74:75], s[10:11], v[108:109]
	v_fma_f64 v[74:75], v[70:71], s[10:11], v[134:135]
	;; [unrolled: 1-line block ×4, first 2 shown]
	v_mul_f64 v[134:135], v[128:129], s[2:3]
	v_mul_f64 v[138:139], v[88:89], s[6:7]
	v_fma_f64 v[82:83], v[128:129], s[22:23], v[136:137]
	v_fma_f64 v[78:79], v[78:79], s[10:11], v[122:123]
	v_mul_f64 v[122:123], v[56:57], s[22:23]
	v_mul_f64 v[136:137], v[52:53], s[10:11]
	;; [unrolled: 1-line block ×3, first 2 shown]
	v_fma_f64 v[70:71], v[70:71], s[10:11], v[114:115]
	v_mul_f64 v[112:113], v[86:87], s[10:11]
	v_mul_f64 v[114:115], v[54:55], s[22:23]
	;; [unrolled: 1-line block ×3, first 2 shown]
	v_fma_f64 v[88:89], v[88:89], s[10:11], v[110:111]
	v_fma_f64 v[110:111], v[58:59], s[6:7], -v[146:147]
	v_mul_f64 v[128:129], v[80:81], s[10:11]
	v_mul_f64 v[116:117], v[140:141], s[22:23]
	;; [unrolled: 1-line block ×3, first 2 shown]
	v_fma_f64 v[68:69], v[126:127], s[22:23], v[134:135]
	v_mul_f64 v[126:127], v[124:125], s[6:7]
	v_fma_f64 v[104:105], v[90:91], s[10:11], v[138:139]
	v_mul_f64 v[134:135], v[78:79], s[10:11]
	v_fma_f64 v[58:59], v[96:97], s[2:3], -v[122:123]
	v_mul_f64 v[122:123], v[130:131], s[8:9]
	v_fma_f64 v[90:91], v[92:93], s[10:11], v[154:155]
	v_fma_f64 v[92:93], v[94:95], s[10:11], v[156:157]
	v_mul_f64 v[94:95], v[72:73], s[22:23]
	v_fma_f64 v[86:87], v[86:87], s[8:9], -v[136:137]
	v_mul_f64 v[136:137], v[100:101], s[22:23]
	v_fma_f64 v[96:97], v[56:57], s[4:5], -v[148:149]
	v_fma_f64 v[56:57], v[98:99], s[22:23], v[150:151]
	v_fma_f64 v[98:99], v[142:143], s[22:23], v[152:153]
	v_fma_f64 v[143:144], v[52:53], s[6:7], -v[112:113]
	v_fma_f64 v[140:141], v[140:141], s[2:3], -v[114:115]
	v_fma_f64 v[147:148], v[108:109], s[22:23], v[120:121]
	v_fma_f64 v[128:129], v[78:79], s[8:9], -v[128:129]
	v_fma_f64 v[145:146], v[54:55], s[4:5], -v[116:117]
	v_add_f64 v[54:55], v[48:49], v[82:83]
	v_add_f64 v[112:113], v[28:29], v[88:89]
	v_fma_f64 v[132:133], v[132:133], s[22:23], v[118:119]
	v_add_f64 v[52:53], v[44:45], v[68:69]
	v_fma_f64 v[130:131], v[130:131], s[10:11], v[126:127]
	v_add_f64 v[114:115], v[32:33], v[104:105]
	v_fma_f64 v[134:135], v[80:81], s[6:7], -v[134:135]
	v_add_f64 v[120:121], v[20:21], v[84:85]
	v_fma_f64 v[149:150], v[124:125], s[10:11], v[122:123]
	v_add_f64 v[122:123], v[24:25], v[110:111]
	v_add_f64 v[80:81], v[48:49], -v[82:83]
	v_fma_f64 v[151:152], v[100:101], s[2:3], -v[94:95]
	v_add_f64 v[82:83], v[20:21], -v[84:85]
	v_fma_f64 v[136:137], v[72:73], s[4:5], -v[136:137]
	v_add_f64 v[84:85], v[24:25], -v[110:111]
	v_add_f64 v[108:109], v[36:37], v[58:59]
	v_add_f64 v[110:111], v[40:41], v[96:97]
	v_add_f64 v[78:79], v[44:45], -v[68:69]
	v_add_f64 v[116:117], v[28:29], -v[88:89]
	;; [unrolled: 1-line block ×5, first 2 shown]
	v_add_f64 v[124:125], v[46:47], v[56:57]
	v_add_f64 v[126:127], v[50:51], v[98:99]
	v_add_f64 v[44:45], v[46:47], -v[56:57]
	v_add_f64 v[46:47], v[50:51], -v[98:99]
	v_add_f64 v[48:49], v[30:31], v[90:91]
	v_add_f64 v[50:51], v[34:35], v[92:93]
	v_add_f64 v[28:29], v[30:31], -v[90:91]
	v_add_f64 v[30:31], v[34:35], -v[92:93]
	v_add_f64 v[32:33], v[22:23], v[86:87]
	v_add_f64 v[34:35], v[26:27], v[143:144]
	v_mul_u32_u24_sdwa v138, v171, v165 dst_sel:DWORD dst_unused:UNUSED_PAD src0_sel:BYTE_0 src1_sel:DWORD
	v_add_f64 v[20:21], v[22:23], -v[86:87]
	v_add_f64 v[22:23], v[26:27], -v[143:144]
	v_add_f64 v[24:25], v[38:39], v[140:141]
	v_add_f64 v[26:27], v[42:43], v[145:146]
	v_lshlrev_b32_sdwa v142, v61, v168 dst_sel:DWORD dst_unused:UNUSED_PAD src0_sel:DWORD src1_sel:BYTE_0
	v_lshlrev_b32_e32 v138, 4, v138
	v_add_f64 v[36:37], v[38:39], -v[140:141]
	v_add_f64 v[38:39], v[42:43], -v[145:146]
	v_add_f64 v[40:41], v[74:75], v[132:133]
	v_add_f64 v[42:43], v[106:107], v[147:148]
	v_add_f64 v[56:57], v[74:75], -v[132:133]
	v_add_f64 v[72:73], v[18:19], v[149:150]
	v_add_f64 v[74:75], v[102:103], v[130:131]
	;; [unrolled: 3-line block ×3, first 2 shown]
	v_add_f64 v[16:17], v[16:17], -v[128:129]
	v_add_f64 v[18:19], v[76:77], -v[134:135]
	v_add3_u32 v139, 0, v159, v160
	v_add3_u32 v142, 0, v158, v142
	v_add_f64 v[58:59], v[106:107], -v[147:148]
	v_add_f64 v[88:89], v[102:103], -v[130:131]
	v_add_f64 v[98:99], v[70:71], v[151:152]
	v_add_f64 v[100:101], v[66:67], v[136:137]
	v_add_f64 v[68:69], v[70:71], -v[151:152]
	v_add_f64 v[70:71], v[66:67], -v[136:137]
	ds_write_b128 v173, v[52:55] offset:48
	ds_write_b128 v173, v[112:115] offset:96
	ds_write_b128 v173, v[120:123] offset:144
	ds_write_b128 v173, v[108:111] offset:192
	ds_write_b128 v173, v[78:81] offset:288
	ds_write_b128 v173, v[116:119] offset:336
	ds_write_b128 v173, v[82:85] offset:384
	ds_write_b128 v173, v[94:97] offset:432
	ds_write_b128 v142, v[4:7]
	ds_write_b128 v142, v[124:127] offset:48
	ds_write_b128 v142, v[48:51] offset:96
	;; [unrolled: 1-line block ×9, first 2 shown]
	ds_write_b128 v139, v[12:15]
	ds_write_b128 v139, v[40:43] offset:48
	ds_write_b128 v139, v[72:75] offset:96
	;; [unrolled: 1-line block ×9, first 2 shown]
	s_waitcnt lgkmcnt(0)
	s_barrier
	buffer_gl0_inv
	s_clause 0x6
	global_load_dwordx4 v[0:3], v138, s[16:17] offset:432
	global_load_dwordx4 v[4:7], v138, s[16:17] offset:448
	;; [unrolled: 1-line block ×7, first 2 shown]
	v_mul_lo_u16 v24, 0x89, v166
	s_clause 0x1
	global_load_dwordx4 v[32:35], v138, s[16:17] offset:544
	global_load_dwordx4 v[46:49], v138, s[16:17] offset:560
	v_mov_b32_e32 v25, 0x8889
	v_lshlrev_b32_sdwa v171, v61, v171 dst_sel:DWORD dst_unused:UNUSED_PAD src0_sel:DWORD src1_sel:BYTE_0
	v_lshrrev_b16 v166, 12, v24
	v_mul_u32_u24_sdwa v25, v164, v25 dst_sel:DWORD dst_unused:UNUSED_PAD src0_sel:WORD_0 src1_sel:DWORD
	v_mul_lo_u16 v24, v166, 30
	v_lshrrev_b32_e32 v169, 20, v25
	v_sub_nc_u16 v167, v163, v24
	v_mul_lo_u16 v25, v169, 30
	v_mul_u32_u24_sdwa v24, v167, v165 dst_sel:DWORD dst_unused:UNUSED_PAD src0_sel:BYTE_0 src1_sel:DWORD
	v_sub_nc_u16 v168, v164, v25
	v_lshlrev_b32_e32 v24, 4, v24
	s_clause 0x7
	global_load_dwordx4 v[66:69], v24, s[16:17] offset:432
	global_load_dwordx4 v[86:89], v24, s[16:17] offset:448
	;; [unrolled: 1-line block ×8, first 2 shown]
	v_mul_u32_u24_sdwa v25, v168, v165 dst_sel:DWORD dst_unused:UNUSED_PAD src0_sel:WORD_0 src1_sel:DWORD
	global_load_dwordx4 v[136:139], v24, s[16:17] offset:560
	v_mul_u32_u24_sdwa v165, v172, v170 dst_sel:DWORD dst_unused:UNUSED_PAD src0_sel:WORD_0 src1_sel:DWORD
	v_lshlrev_b32_e32 v42, 4, v25
	s_clause 0x7
	global_load_dwordx4 v[142:145], v42, s[16:17] offset:432
	global_load_dwordx4 v[148:151], v42, s[16:17] offset:448
	;; [unrolled: 1-line block ×8, first 2 shown]
	ds_read_b128 v[24:27], v162 offset:4320
	ds_read_b128 v[36:39], v162 offset:8640
	;; [unrolled: 1-line block ×3, first 2 shown]
	global_load_dwordx4 v[189:192], v42, s[16:17] offset:560
	ds_read_b128 v[70:73], v162 offset:17280
	v_add3_u32 v165, 0, v165, v171
	s_waitcnt vmcnt(26) lgkmcnt(3)
	v_mul_f64 v[40:41], v[26:27], v[2:3]
	v_mul_f64 v[2:3], v[24:25], v[2:3]
	s_waitcnt vmcnt(25) lgkmcnt(2)
	v_mul_f64 v[42:43], v[38:39], v[6:7]
	v_mul_f64 v[6:7], v[36:37], v[6:7]
	;; [unrolled: 3-line block ×3, first 2 shown]
	v_fma_f64 v[24:25], v[24:25], v[0:1], -v[40:41]
	v_fma_f64 v[26:27], v[26:27], v[0:1], v[2:3]
	ds_read_b128 v[0:3], v162 offset:21600
	ds_read_b128 v[74:77], v162 offset:25920
	s_waitcnt vmcnt(23) lgkmcnt(2)
	v_mul_f64 v[40:41], v[72:73], v[14:15]
	v_fma_f64 v[52:53], v[36:37], v[4:5], -v[42:43]
	v_fma_f64 v[42:43], v[38:39], v[4:5], v[6:7]
	v_mul_f64 v[14:15], v[70:71], v[14:15]
	ds_read_b128 v[4:7], v162 offset:30240
	v_fma_f64 v[38:39], v[54:55], v[8:9], -v[44:45]
	v_fma_f64 v[36:37], v[56:57], v[8:9], v[10:11]
	ds_read_b128 v[8:11], v162 offset:34560
	s_waitcnt vmcnt(22) lgkmcnt(3)
	v_mul_f64 v[44:45], v[2:3], v[18:19]
	v_mul_f64 v[18:19], v[0:1], v[18:19]
	s_waitcnt vmcnt(21) lgkmcnt(2)
	v_mul_f64 v[50:51], v[76:77], v[22:23]
	v_mul_f64 v[22:23], v[74:75], v[22:23]
	v_fma_f64 v[80:81], v[70:71], v[12:13], -v[40:41]
	s_waitcnt vmcnt(20) lgkmcnt(1)
	v_mul_f64 v[40:41], v[6:7], v[30:31]
	v_mul_f64 v[30:31], v[4:5], v[30:31]
	v_fma_f64 v[72:73], v[72:73], v[12:13], v[14:15]
	v_fma_f64 v[70:71], v[0:1], v[16:17], -v[44:45]
	v_fma_f64 v[44:45], v[2:3], v[16:17], v[18:19]
	ds_read_b128 v[0:3], v162 offset:38880
	ds_read_b128 v[12:15], v162 offset:5760
	v_fma_f64 v[90:91], v[74:75], v[20:21], -v[50:51]
	v_fma_f64 v[82:83], v[76:77], v[20:21], v[22:23]
	s_waitcnt vmcnt(19) lgkmcnt(2)
	v_mul_f64 v[20:21], v[10:11], v[34:35]
	v_mul_f64 v[22:23], v[8:9], v[34:35]
	ds_read_b128 v[16:19], v162 offset:10080
	v_fma_f64 v[76:77], v[4:5], v[28:29], -v[40:41]
	v_fma_f64 v[56:57], v[6:7], v[28:29], v[30:31]
	ds_read_b128 v[4:7], v162 offset:14400
	s_waitcnt vmcnt(18) lgkmcnt(3)
	v_mul_f64 v[28:29], v[2:3], v[48:49]
	v_mul_f64 v[30:31], v[0:1], v[48:49]
	s_waitcnt vmcnt(17) lgkmcnt(2)
	v_mul_f64 v[34:35], v[14:15], v[68:69]
	v_mul_f64 v[40:41], v[12:13], v[68:69]
	v_add_f64 v[48:49], v[72:73], v[82:83]
	v_fma_f64 v[120:121], v[8:9], v[32:33], -v[20:21]
	v_fma_f64 v[106:107], v[10:11], v[32:33], v[22:23]
	s_waitcnt vmcnt(16) lgkmcnt(1)
	v_mul_f64 v[20:21], v[18:19], v[88:89]
	v_mul_f64 v[22:23], v[16:17], v[88:89]
	s_waitcnt vmcnt(15) lgkmcnt(0)
	v_mul_f64 v[32:33], v[6:7], v[100:101]
	v_fma_f64 v[96:97], v[0:1], v[46:47], -v[28:29]
	v_fma_f64 v[84:85], v[2:3], v[46:47], v[30:31]
	ds_read_b128 v[0:3], v162 offset:18720
	ds_read_b128 v[8:11], v162 offset:23040
	v_fma_f64 v[28:29], v[12:13], v[66:67], -v[34:35]
	v_mul_f64 v[34:35], v[4:5], v[100:101]
	v_fma_f64 v[30:31], v[14:15], v[66:67], v[40:41]
	ds_read_b128 v[12:15], v162 offset:27360
	v_add_f64 v[50:51], v[42:43], v[106:107]
	v_fma_f64 v[92:93], v[16:17], v[86:87], -v[20:21]
	v_fma_f64 v[86:87], v[18:19], v[86:87], v[22:23]
	v_fma_f64 v[78:79], v[4:5], v[98:99], -v[32:33]
	v_add_f64 v[171:172], v[120:121], -v[90:91]
	s_waitcnt vmcnt(14) lgkmcnt(2)
	v_mul_f64 v[16:17], v[2:3], v[104:105]
	s_waitcnt vmcnt(13) lgkmcnt(1)
	v_mul_f64 v[20:21], v[10:11], v[110:111]
	v_mul_f64 v[22:23], v[8:9], v[110:111]
	;; [unrolled: 1-line block ×3, first 2 shown]
	v_fma_f64 v[58:59], v[6:7], v[98:99], v[34:35]
	ds_read_b128 v[4:7], v162 offset:31680
	s_waitcnt vmcnt(12) lgkmcnt(1)
	v_mul_f64 v[32:33], v[14:15], v[114:115]
	v_mul_f64 v[34:35], v[12:13], v[114:115]
	v_fma_f64 v[116:117], v[0:1], v[102:103], -v[16:17]
	v_fma_f64 v[98:99], v[8:9], v[108:109], -v[20:21]
	v_fma_f64 v[88:89], v[10:11], v[108:109], v[22:23]
	v_fma_f64 v[104:105], v[2:3], v[102:103], v[18:19]
	s_waitcnt vmcnt(11) lgkmcnt(0)
	v_mul_f64 v[20:21], v[6:7], v[124:125]
	v_mul_f64 v[22:23], v[4:5], v[124:125]
	ds_read_b128 v[0:3], v162 offset:36000
	ds_read_b128 v[16:19], v162 offset:40320
	;; [unrolled: 1-line block ×3, first 2 shown]
	v_fma_f64 v[130:131], v[12:13], v[112:113], -v[32:33]
	v_fma_f64 v[126:127], v[14:15], v[112:113], v[34:35]
	v_add_f64 v[205:206], v[98:99], -v[78:79]
	s_waitcnt vmcnt(10) lgkmcnt(2)
	v_mul_f64 v[12:13], v[2:3], v[134:135]
	v_mul_f64 v[14:15], v[0:1], v[134:135]
	v_fma_f64 v[114:115], v[4:5], v[122:123], -v[20:21]
	v_fma_f64 v[100:101], v[6:7], v[122:123], v[22:23]
	ds_read_b128 v[4:7], v162 offset:11520
	s_waitcnt vmcnt(9) lgkmcnt(2)
	v_mul_f64 v[32:33], v[18:19], v[138:139]
	v_mul_f64 v[34:35], v[16:17], v[138:139]
	s_waitcnt vmcnt(8) lgkmcnt(1)
	v_mul_f64 v[20:21], v[10:11], v[144:145]
	v_mul_f64 v[22:23], v[8:9], v[144:145]
	v_add_f64 v[199:200], v[104:105], -v[126:127]
	v_fma_f64 v[146:147], v[0:1], v[132:133], -v[12:13]
	v_fma_f64 v[140:141], v[2:3], v[132:133], v[14:15]
	ds_read_b128 v[0:3], v162 offset:15840
	ds_read_b128 v[12:15], v162 offset:20160
	s_waitcnt vmcnt(7) lgkmcnt(2)
	v_mul_f64 v[40:41], v[6:7], v[150:151]
	v_mul_f64 v[46:47], v[4:5], v[150:151]
	v_fma_f64 v[132:133], v[16:17], v[136:137], -v[32:33]
	v_fma_f64 v[122:123], v[18:19], v[136:137], v[34:35]
	ds_read_b128 v[16:19], v162 offset:24480
	v_fma_f64 v[32:33], v[8:9], v[142:143], -v[20:21]
	v_fma_f64 v[34:35], v[10:11], v[142:143], v[22:23]
	v_add_f64 v[201:202], v[98:99], v[114:115]
	v_add_f64 v[203:204], v[98:99], -v[114:115]
	v_add_f64 v[209:210], v[88:89], v[100:101]
	v_add_f64 v[211:212], v[88:89], -v[100:101]
	s_waitcnt vmcnt(6) lgkmcnt(2)
	v_mul_f64 v[8:9], v[2:3], v[154:155]
	v_mul_f64 v[10:11], v[0:1], v[154:155]
	s_waitcnt vmcnt(5) lgkmcnt(1)
	v_mul_f64 v[20:21], v[14:15], v[158:159]
	v_mul_f64 v[22:23], v[12:13], v[158:159]
	v_fma_f64 v[134:135], v[4:5], v[148:149], -v[40:41]
	v_fma_f64 v[128:129], v[6:7], v[148:149], v[46:47]
	ds_read_b128 v[4:7], v162 offset:28800
	s_waitcnt vmcnt(4) lgkmcnt(1)
	v_mul_f64 v[40:41], v[18:19], v[175:176]
	v_mul_f64 v[46:47], v[16:17], v[175:176]
	v_add_f64 v[193:194], v[92:93], -v[146:147]
	v_add_f64 v[195:196], v[146:147], -v[130:131]
	;; [unrolled: 1-line block ×6, first 2 shown]
	v_fma_f64 v[112:113], v[0:1], v[152:153], -v[8:9]
	v_fma_f64 v[94:95], v[2:3], v[152:153], v[10:11]
	ds_read_b128 v[0:3], v162
	ds_read_b128 v[8:11], v162 offset:33120
	v_fma_f64 v[144:145], v[12:13], v[156:157], -v[20:21]
	v_fma_f64 v[138:139], v[14:15], v[156:157], v[22:23]
	s_waitcnt vmcnt(3) lgkmcnt(2)
	v_mul_f64 v[12:13], v[6:7], v[179:180]
	v_mul_f64 v[14:15], v[4:5], v[179:180]
	v_fma_f64 v[136:137], v[16:17], v[173:174], -v[40:41]
	v_fma_f64 v[124:125], v[18:19], v[173:174], v[46:47]
	v_add_f64 v[22:23], v[26:27], v[36:37]
	v_add_f64 v[20:21], v[24:25], v[38:39]
	v_add_f64 v[179:180], v[70:71], -v[76:77]
	s_waitcnt lgkmcnt(1)
	v_add_f64 v[18:19], v[2:3], v[42:43]
	s_waitcnt vmcnt(2) lgkmcnt(0)
	v_mul_f64 v[40:41], v[10:11], v[183:184]
	v_mul_f64 v[46:47], v[8:9], v[183:184]
	v_add_f64 v[16:17], v[0:1], v[52:53]
	v_fma_f64 v[102:103], v[48:49], -0.5, v[2:3]
	v_fma_f64 v[108:109], v[50:51], -0.5, v[2:3]
	v_fma_f64 v[152:153], v[4:5], v[177:178], -v[12:13]
	v_fma_f64 v[150:151], v[6:7], v[177:178], v[14:15]
	ds_read_b128 v[4:7], v162 offset:37440
	ds_read_b128 v[12:15], v162 offset:41760
	v_add_f64 v[22:23], v[22:23], v[44:45]
	v_add_f64 v[2:3], v[86:87], v[140:141]
	v_add_f64 v[20:21], v[20:21], v[70:71]
	v_add_f64 v[177:178], v[70:71], v[76:77]
	v_add_f64 v[183:184], v[96:97], -v[76:77]
	v_add_f64 v[18:19], v[18:19], v[72:73]
	v_fma_f64 v[148:149], v[8:9], v[181:182], -v[40:41]
	v_fma_f64 v[142:143], v[10:11], v[181:182], v[46:47]
	v_add_f64 v[16:17], v[16:17], v[80:81]
	v_add_f64 v[181:182], v[38:39], -v[96:97]
	s_waitcnt vmcnt(1) lgkmcnt(1)
	v_mul_f64 v[8:9], v[6:7], v[187:188]
	v_mul_f64 v[10:11], v[4:5], v[187:188]
	s_waitcnt vmcnt(0) lgkmcnt(0)
	v_mul_f64 v[40:41], v[14:15], v[191:192]
	v_mul_f64 v[46:47], v[12:13], v[191:192]
	v_add_f64 v[22:23], v[22:23], v[56:57]
	v_add_f64 v[187:188], v[44:45], -v[56:57]
	v_add_f64 v[20:21], v[20:21], v[76:77]
	v_add_f64 v[76:77], v[76:77], -v[96:97]
	v_add_f64 v[191:192], v[84:85], -v[56:57]
	;; [unrolled: 1-line block ×3, first 2 shown]
	v_add_f64 v[18:19], v[18:19], v[82:83]
	v_add_f64 v[225:226], v[136:137], v[148:149]
	v_add_f64 v[227:228], v[136:137], -v[148:149]
	v_add_f64 v[16:17], v[16:17], v[90:91]
	v_add_f64 v[233:234], v[124:125], v[142:143]
	v_add_f64 v[235:236], v[124:125], -v[142:143]
	v_fma_f64 v[160:161], v[4:5], v[185:186], -v[8:9]
	v_fma_f64 v[156:157], v[6:7], v[185:186], v[10:11]
	v_add_f64 v[8:9], v[80:81], v[90:91]
	v_add_f64 v[10:11], v[52:53], v[120:121]
	;; [unrolled: 1-line block ×3, first 2 shown]
	v_fma_f64 v[158:159], v[12:13], v[189:190], -v[40:41]
	v_fma_f64 v[154:155], v[14:15], v[189:190], v[46:47]
	v_add_f64 v[12:13], v[116:117], v[130:131]
	v_add_f64 v[14:15], v[92:93], v[146:147]
	ds_read_b128 v[4:7], v162 offset:1440
	v_add_f64 v[54:55], v[20:21], v[96:97]
	v_add_f64 v[185:186], v[44:45], v[56:57]
	v_add_f64 v[189:190], v[36:37], -v[84:85]
	v_add_f64 v[56:57], v[56:57], -v[84:85]
	v_add_f64 v[18:19], v[18:19], v[106:107]
	v_add_f64 v[16:17], v[16:17], v[120:121]
	v_add_f64 v[217:218], v[134:135], -v[160:161]
	v_add_f64 v[219:220], v[160:161], -v[152:153]
	v_fma_f64 v[110:111], v[8:9], -0.5, v[0:1]
	v_fma_f64 v[118:119], v[10:11], -0.5, v[0:1]
	v_add_f64 v[0:1], v[104:105], v[126:127]
	v_add_f64 v[221:222], v[128:129], -v[156:157]
	v_add_f64 v[229:230], v[112:113], -v[158:159]
	s_waitcnt lgkmcnt(0)
	v_fma_f64 v[68:69], v[12:13], -0.5, v[4:5]
	v_fma_f64 v[74:75], v[14:15], -0.5, v[4:5]
	v_add_f64 v[12:13], v[144:145], v[152:153]
	v_add_f64 v[14:15], v[34:35], v[94:95]
	v_add_f64 v[231:232], v[158:159], -v[148:149]
	v_add_f64 v[237:238], v[94:95], -v[154:155]
	v_add_f64 v[239:240], v[94:95], v[154:155]
	v_add_f64 v[241:242], v[154:155], -v[142:143]
	v_add_f64 v[22:23], v[18:19], v[66:67]
	v_add_f64 v[18:19], v[18:19], -v[66:67]
	v_fma_f64 v[66:67], v[2:3], -0.5, v[6:7]
	v_add_f64 v[2:3], v[6:7], v[86:87]
	v_add_f64 v[20:21], v[16:17], v[54:55]
	v_add_f64 v[16:17], v[16:17], -v[54:55]
	v_fma_f64 v[48:49], v[0:1], -0.5, v[6:7]
	v_add_f64 v[0:1], v[4:5], v[92:93]
	v_add_f64 v[4:5], v[28:29], v[78:79]
	;; [unrolled: 1-line block ×9, first 2 shown]
	v_add_f64 v[142:143], v[142:143], -v[154:155]
	v_add_f64 v[2:3], v[2:3], v[126:127]
	v_add_f64 v[0:1], v[0:1], v[130:131]
	;; [unrolled: 1-line block ×4, first 2 shown]
	v_add_f64 v[100:101], v[100:101], -v[122:123]
	v_add_f64 v[175:176], v[14:15], v[154:155]
	v_add_f64 v[2:3], v[2:3], v[140:141]
	;; [unrolled: 1-line block ×7, first 2 shown]
	v_add_f64 v[0:1], v[0:1], -v[8:9]
	v_add_f64 v[2:3], v[2:3], -v[10:11]
	ds_read_b128 v[8:11], v162 offset:2880
	s_waitcnt lgkmcnt(0)
	s_barrier
	buffer_gl0_inv
	ds_write_b128 v165, v[20:23]
	v_add_f64 v[20:21], v[52:53], -v[80:81]
	v_add_f64 v[22:23], v[52:53], -v[120:121]
	;; [unrolled: 1-line block ×6, first 2 shown]
	ds_write_b128 v165, v[16:19] offset:2400
	v_fma_f64 v[46:47], v[12:13], -0.5, v[8:9]
	v_add_f64 v[12:13], v[134:135], v[160:161]
	v_add_f64 v[154:155], v[20:21], v[171:172]
	v_fma_f64 v[20:21], v[185:186], -0.5, v[26:27]
	v_fma_f64 v[54:55], v[12:13], -0.5, v[8:9]
	v_add_f64 v[12:13], v[138:139], v[150:151]
	v_add_f64 v[8:9], v[8:9], v[134:135]
	v_fma_f64 v[40:41], v[12:13], -0.5, v[10:11]
	v_add_f64 v[12:13], v[128:129], v[156:157]
	v_add_f64 v[8:9], v[8:9], v[144:145]
	;; [unrolled: 3-line block ×3, first 2 shown]
	v_add_f64 v[8:9], v[8:9], v[152:153]
	v_add_f64 v[10:11], v[10:11], v[138:139]
	;; [unrolled: 1-line block ×6, first 2 shown]
	v_add_f64 v[148:149], v[148:149], -v[158:159]
	v_add_f64 v[10:11], v[10:11], v[156:157]
	v_add_f64 v[173:174], v[12:13], v[158:159]
	;; [unrolled: 1-line block ×4, first 2 shown]
	v_add_f64 v[8:9], v[8:9], -v[173:174]
	v_add_f64 v[10:11], v[10:11], -v[175:176]
	;; [unrolled: 1-line block ×9, first 2 shown]
	v_add_f64 v[38:39], v[38:39], v[96:97]
	v_add_f64 v[96:97], v[36:37], -v[44:45]
	v_add_f64 v[44:45], v[44:45], -v[36:37]
	v_add_f64 v[36:37], v[36:37], v[84:85]
	v_add_f64 v[84:85], v[92:93], -v[116:117]
	v_add_f64 v[92:93], v[116:117], -v[92:93]
	;; [unrolled: 1-line block ×9, first 2 shown]
	v_add_f64 v[78:79], v[78:79], v[132:133]
	v_add_f64 v[98:99], v[132:133], -v[114:115]
	v_add_f64 v[114:115], v[114:115], -v[132:133]
	;; [unrolled: 1-line block ×4, first 2 shown]
	v_add_f64 v[58:59], v[58:59], v[122:123]
	v_add_f64 v[122:123], v[134:135], -v[144:145]
	v_add_f64 v[134:135], v[144:145], -v[134:135]
	;; [unrolled: 1-line block ×10, first 2 shown]
	v_add_f64 v[112:113], v[112:113], v[158:159]
	v_add_f64 v[158:159], v[94:95], -v[124:125]
	v_add_f64 v[124:125], v[124:125], -v[94:95]
	v_fma_f64 v[26:27], v[36:37], -0.5, v[26:27]
	v_add_f64 v[36:37], v[52:53], v[90:91]
	v_fma_f64 v[52:53], v[177:178], -0.5, v[24:25]
	v_fma_f64 v[24:25], v[38:39], -0.5, v[24:25]
	v_add_f64 v[38:39], v[70:71], v[76:77]
	v_fma_f64 v[76:77], v[201:202], -0.5, v[28:29]
	v_fma_f64 v[90:91], v[173:174], s[6:7], v[110:111]
	v_add_f64 v[201:202], v[88:89], v[100:101]
	v_fma_f64 v[88:89], v[173:174], s[8:9], v[110:111]
	v_fma_f64 v[110:111], v[80:81], s[8:9], v[108:109]
	;; [unrolled: 1-line block ×3, first 2 shown]
	v_add_f64 v[177:178], v[84:85], v[195:196]
	v_add_f64 v[146:147], v[146:147], v[104:105]
	;; [unrolled: 1-line block ×3, first 2 shown]
	v_fma_f64 v[114:115], v[22:23], s[6:7], v[102:103]
	v_fma_f64 v[102:103], v[22:23], s[8:9], v[102:103]
	v_add_f64 v[42:43], v[42:43], v[82:83]
	v_add_f64 v[100:101], v[128:129], v[150:151]
	v_fma_f64 v[82:83], v[225:226], -0.5, v[32:33]
	v_fma_f64 v[32:33], v[112:113], -0.5, v[32:33]
	v_add_f64 v[112:113], v[136:137], v[148:149]
	v_add_f64 v[104:105], v[124:125], v[142:143]
	;; [unrolled: 1-line block ×7, first 2 shown]
	v_fma_f64 v[84:85], v[175:176], s[6:7], v[118:119]
	v_fma_f64 v[86:87], v[175:176], s[8:9], v[118:119]
	;; [unrolled: 1-line block ×10, first 2 shown]
	v_add_f64 v[191:192], v[96:97], v[191:192]
	v_fma_f64 v[28:29], v[78:79], -0.5, v[28:29]
	v_add_f64 v[96:97], v[156:157], v[231:232]
	v_add_f64 v[44:45], v[44:45], v[56:57]
	v_fma_f64 v[56:57], v[209:210], -0.5, v[30:31]
	v_fma_f64 v[30:31], v[58:59], -0.5, v[30:31]
	v_add_f64 v[94:95], v[122:123], v[219:220]
	v_fma_f64 v[78:79], v[233:234], -0.5, v[34:35]
	v_fma_f64 v[34:35], v[239:240], -0.5, v[34:35]
	v_add_f64 v[185:186], v[140:141], v[98:99]
	v_add_f64 v[98:99], v[132:133], v[215:216]
	;; [unrolled: 1-line block ×3, first 2 shown]
	v_fma_f64 v[84:85], v[173:174], s[2:3], v[84:85]
	v_fma_f64 v[86:87], v[173:174], s[4:5], v[86:87]
	;; [unrolled: 1-line block ×3, first 2 shown]
	v_add_f64 v[92:93], v[160:161], v[138:139]
	v_fma_f64 v[160:161], v[80:81], s[4:5], v[114:115]
	v_fma_f64 v[148:149], v[189:190], s[2:3], v[108:109]
	;; [unrolled: 1-line block ×49, first 2 shown]
	v_mov_b32_e32 v161, 0x6d3b
	v_fma_f64 v[209:210], v[207:208], s[4:5], v[20:21]
	v_fma_f64 v[207:208], v[207:208], s[2:3], v[24:25]
	v_fma_f64 v[20:21], v[223:224], s[6:7], v[54:55]
	v_fma_f64 v[24:25], v[223:224], s[8:9], v[54:55]
	v_fma_f64 v[110:111], v[203:204], s[4:5], v[30:31]
	v_fma_f64 v[114:115], v[203:204], s[2:3], v[56:57]
	v_fma_f64 v[30:31], v[221:222], s[6:7], v[46:47]
	v_fma_f64 v[46:47], v[217:218], s[6:7], v[40:41]
	v_fma_f64 v[40:41], v[217:218], s[8:9], v[40:41]
	v_fma_f64 v[52:53], v[185:186], s[10:11], v[211:212]
	v_fma_f64 v[138:139], v[223:224], s[2:3], v[28:29]
	v_fma_f64 v[28:29], v[36:37], s[10:11], v[84:85]
	v_fma_f64 v[84:85], v[191:192], s[10:11], v[179:180]
	v_fma_f64 v[54:55], v[195:196], s[10:11], v[205:206]
	v_fma_f64 v[68:69], v[201:202], s[10:11], v[209:210]
	v_fma_f64 v[56:57], v[201:202], s[10:11], v[207:208]
	v_fma_f64 v[108:109], v[221:222], s[2:3], v[20:21]
	v_fma_f64 v[102:103], v[221:222], s[4:5], v[24:25]
	v_fma_f64 v[20:21], v[144:145], s[8:9], v[50:51]
	v_fma_f64 v[24:25], v[144:145], s[6:7], v[50:51]
	v_fma_f64 v[50:51], v[229:230], s[8:9], v[78:79]
	v_fma_f64 v[130:131], v[144:145], s[4:5], v[46:47]
	v_fma_f64 v[124:125], v[144:145], s[2:3], v[40:41]
	v_fma_f64 v[144:145], v[98:99], s[10:11], v[110:111]
	v_fma_f64 v[122:123], v[223:224], s[4:5], v[30:31]
	v_fma_f64 v[30:31], v[58:59], s[10:11], v[181:182]
	v_fma_f64 v[40:41], v[171:172], s[10:11], v[173:174]
	v_fma_f64 v[46:47], v[177:178], s[10:11], v[215:216]
	v_mul_f64 v[18:19], v[68:69], s[8:9]
	v_fma_f64 v[108:109], v[106:107], s[10:11], v[108:109]
	v_fma_f64 v[118:119], v[217:218], s[4:5], v[20:21]
	;; [unrolled: 1-line block ×9, first 2 shown]
	v_lshlrev_b32_e32 v152, 1, v163
	v_mov_b32_e32 v67, 0
	v_lshlrev_b32_e32 v66, 1, v60
	v_mov_b32_e32 v153, v67
	v_lshlrev_b64 v[150:151], 4, v[66:67]
	v_mov_b32_e32 v160, v67
	v_add_nc_u32_e32 v171, 0x12c, v66
	v_mov_b32_e32 v172, v67
	v_fma_f64 v[110:111], v[100:101], s[10:11], v[118:119]
	v_fma_f64 v[100:101], v[100:101], s[10:11], v[116:117]
	;; [unrolled: 1-line block ×13, first 2 shown]
	v_mul_f64 v[116:117], v[82:83], s[8:9]
	v_fma_f64 v[132:133], v[112:113], s[10:11], v[132:133]
	v_fma_f64 v[134:135], v[229:230], s[4:5], v[20:21]
	;; [unrolled: 1-line block ×11, first 2 shown]
	v_mul_f64 v[112:113], v[80:81], s[6:7]
	v_fma_f64 v[20:21], v[36:37], s[10:11], v[86:87]
	v_fma_f64 v[86:87], v[183:184], s[10:11], v[156:157]
	;; [unrolled: 1-line block ×4, first 2 shown]
	v_mul_f64 v[118:119], v[88:89], s[2:3]
	v_mul_f64 v[120:121], v[76:77], s[10:11]
	v_fma_f64 v[102:103], v[96:97], s[10:11], v[126:127]
	v_mul_f64 v[126:127], v[78:79], s[10:11]
	v_fma_f64 v[136:137], v[96:97], s[10:11], v[136:137]
	v_fma_f64 v[114:115], v[94:95], s[10:11], v[138:139]
	;; [unrolled: 1-line block ×7, first 2 shown]
	v_mul_f64 v[90:91], v[144:145], s[2:3]
	v_mul_f64 v[16:17], v[70:71], s[4:5]
	v_fma_f64 v[94:95], v[94:95], s[10:11], v[122:123]
	v_mul_f64 v[122:123], v[74:75], s[22:23]
	v_fma_f64 v[92:93], v[92:93], s[10:11], v[124:125]
	;; [unrolled: 2-line block ×3, first 2 shown]
	v_mul_f64 v[112:113], v[56:57], s[10:11]
	v_mul_f64 v[142:143], v[86:87], s[4:5]
	v_fma_f64 v[80:81], v[80:81], s[10:11], v[116:117]
	v_mul_f64 v[116:117], v[54:55], s[10:11]
	v_fma_f64 v[86:87], v[86:87], s[22:23], v[118:119]
	v_mul_f64 v[118:119], v[58:59], s[6:7]
	v_fma_f64 v[120:121], v[78:79], s[8:9], -v[120:121]
	v_mul_f64 v[78:79], v[52:53], s[22:23]
	v_fma_f64 v[126:127], v[76:77], s[6:7], -v[126:127]
	v_mul_f64 v[76:77], v[146:147], s[22:23]
	v_fma_f64 v[36:37], v[154:155], s[10:11], v[158:159]
	v_lshlrev_b32_e32 v154, 1, v164
	v_add_nc_u32_e32 v139, 0x2d0, v60
	v_mov_b32_e32 v155, v67
	v_add_nc_u32_e32 v159, 0x78, v66
	v_fma_f64 v[128:129], v[70:71], s[22:23], v[90:91]
	v_mul_f64 v[90:91], v[134:135], s[8:9]
	v_fma_f64 v[130:131], v[144:145], s[22:23], v[16:17]
	v_mul_f64 v[16:17], v[132:133], s[6:7]
	v_fma_f64 v[122:123], v[84:85], s[2:3], -v[122:123]
	v_mul_f64 v[84:85], v[140:141], s[2:3]
	v_fma_f64 v[124:125], v[74:75], s[4:5], -v[124:125]
	v_fma_f64 v[112:113], v[54:55], s[6:7], -v[112:113]
	v_mul_f64 v[54:55], v[102:103], s[22:23]
	v_mul_f64 v[74:75], v[136:137], s[4:5]
	v_fma_f64 v[144:145], v[58:59], s[10:11], v[18:19]
	v_mul_f64 v[18:19], v[106:107], s[10:11]
	v_fma_f64 v[68:69], v[68:69], s[10:11], v[118:119]
	v_fma_f64 v[116:117], v[56:57], s[8:9], -v[116:117]
	v_fma_f64 v[118:119], v[146:147], s[2:3], -v[78:79]
	v_mul_f64 v[56:57], v[104:105], s[10:11]
	v_fma_f64 v[146:147], v[52:53], s[4:5], -v[76:77]
	v_mul_f64 v[52:53], v[72:73], s[22:23]
	v_fma_f64 v[88:89], v[88:89], s[22:23], v[142:143]
	v_add_nc_u32_e32 v142, 0x276, v60
	v_add_nc_u32_e32 v143, 0x21c, v60
	v_add_f64 v[58:59], v[32:33], v[82:83]
	v_add_f64 v[77:78], v[24:25], v[126:127]
	v_fma_f64 v[132:133], v[132:133], s[10:11], v[90:91]
	v_add_nc_u32_e32 v138, 0x10e, v60
	v_fma_f64 v[134:135], v[134:135], s[10:11], v[16:17]
	v_add_f64 v[16:17], v[44:45], v[86:87]
	v_fma_f64 v[148:149], v[136:137], s[22:23], v[84:85]
	v_add_nc_u32_e32 v136, 0x32a, v60
	v_lshrrev_b16 v177, 2, v143
	v_fma_f64 v[173:174], v[72:73], s[2:3], -v[54:55]
	v_fma_f64 v[140:141], v[140:141], s[22:23], v[74:75]
	v_add_f64 v[75:76], v[20:21], v[120:121]
	v_fma_f64 v[157:158], v[104:105], s[8:9], -v[18:19]
	v_add_f64 v[73:74], v[32:33], -v[82:83]
	v_add_f64 v[83:84], v[36:37], v[122:123]
	v_add_f64 v[71:72], v[28:29], -v[80:81]
	v_fma_f64 v[163:164], v[106:107], s[6:7], -v[56:57]
	v_add_f64 v[56:57], v[28:29], v[80:81]
	v_fma_f64 v[175:176], v[102:103], s[4:5], -v[52:53]
	v_add_f64 v[18:19], v[48:49], v[88:89]
	v_add_f64 v[52:53], v[44:45], -v[86:87]
	v_add_f64 v[85:86], v[40:41], v[124:125]
	v_add_f64 v[54:55], v[48:49], -v[88:89]
	v_add_f64 v[79:80], v[20:21], -v[120:121]
	;; [unrolled: 1-line block ×5, first 2 shown]
	v_add_f64 v[102:103], v[46:47], v[128:129]
	v_add_f64 v[44:45], v[46:47], -v[128:129]
	v_add_f64 v[32:33], v[22:23], v[116:117]
	v_add_f64 v[20:21], v[22:23], -v[116:117]
	;; [unrolled: 2-line block ×3, first 2 shown]
	v_add_f64 v[116:117], v[108:109], v[132:133]
	v_add_f64 v[118:119], v[110:111], v[134:135]
	v_add_f64 v[106:107], v[108:109], -v[132:133]
	v_add_f64 v[108:109], v[110:111], -v[134:135]
	v_add_f64 v[124:125], v[94:95], v[173:174]
	v_add_f64 v[128:129], v[94:95], -v[173:174]
	v_lshrrev_b16 v95, 2, v142
	v_lshrrev_b16 v110, 2, v139
	;; [unrolled: 1-line block ×3, first 2 shown]
	v_subrev_nc_u32_e32 v156, 30, v60
	v_add_f64 v[104:105], v[50:51], v[130:131]
	v_add_f64 v[46:47], v[50:51], -v[130:131]
	v_add_f64 v[48:49], v[30:31], v[144:145]
	v_add_f64 v[50:51], v[34:35], v[68:69]
	v_add_f64 v[28:29], v[30:31], -v[144:145]
	v_add_f64 v[30:31], v[34:35], -v[68:69]
	v_add_f64 v[126:127], v[92:93], v[175:176]
	v_add_f64 v[130:131], v[92:93], -v[175:176]
	v_lshlrev_b64 v[68:69], 4, v[152:153]
	v_lshlrev_b64 v[91:92], 4, v[154:155]
	v_mul_u32_u24_sdwa v95, v95, v161 dst_sel:DWORD dst_unused:UNUSED_PAD src0_sel:WORD_0 src1_sel:DWORD
	v_mul_u32_u24_sdwa v133, v110, v161 dst_sel:DWORD dst_unused:UNUSED_PAD src0_sel:WORD_0 src1_sel:DWORD
	;; [unrolled: 1-line block ×3, first 2 shown]
	v_add_f64 v[34:35], v[26:27], v[112:113]
	v_add_f64 v[22:23], v[26:27], -v[112:113]
	v_add_f64 v[26:27], v[42:43], v[146:147]
	v_add_f64 v[38:39], v[42:43], -v[146:147]
	v_add_f64 v[40:41], v[114:115], v[148:149]
	v_add_f64 v[42:43], v[96:97], v[140:141]
	v_add_f64 v[112:113], v[114:115], -v[148:149]
	v_add_f64 v[114:115], v[96:97], -v[140:141]
	v_add_f64 v[120:121], v[98:99], v[157:158]
	v_add_f64 v[122:123], v[100:101], v[163:164]
	v_add_f64 v[96:97], v[98:99], -v[157:158]
	v_add_f64 v[98:99], v[100:101], -v[163:164]
	v_lshlrev_b64 v[93:94], 4, v[159:160]
	v_lshlrev_b64 v[100:101], 4, v[171:172]
	v_mul_u32_u24_sdwa v132, v177, v161 dst_sel:DWORD dst_unused:UNUSED_PAD src0_sel:WORD_0 src1_sel:DWORD
	v_cndmask_b32_e64 v137, v156, v138, s0
	v_add_co_u32 v144, s0, s16, v150
	v_add_co_ci_u32_e64 v141, s0, s17, v151, s0
	v_lshrrev_b32_e32 v95, 21, v95
	v_lshrrev_b32_e32 v148, 21, v133
	;; [unrolled: 1-line block ×3, first 2 shown]
	v_add_co_u32 v140, s2, s16, v68
	v_add_co_u32 v135, s3, s16, v91
	v_lshrrev_b32_e32 v134, 21, v132
	v_add_co_ci_u32_e64 v133, s2, s17, v69, s2
	v_add_co_ci_u32_e64 v132, s3, s17, v92, s3
	v_add_co_u32 v145, s0, 0x1000, v144
	ds_write_b128 v165, v[16:19] offset:480
	v_add_co_u32 v19, s2, s16, v93
	v_add_co_u32 v68, s3, s16, v100
	v_mul_u32_u24_e32 v147, 0x12c0, v169
	v_add_co_u32 v16, s1, 0x1290, v144
	v_add_co_ci_u32_e64 v146, s0, 0, v141, s0
	v_add_co_ci_u32_e64 v69, s0, s17, v94, s2
	;; [unrolled: 1-line block ×3, first 2 shown]
	v_mul_u32_u24_sdwa v92, v166, v170 dst_sel:DWORD dst_unused:UNUSED_PAD src0_sel:WORD_0 src1_sel:DWORD
	v_mul_lo_u16 v94, 0x12c, v95
	v_mul_lo_u16 v95, 0x12c, v148
	v_lshlrev_b32_sdwa v101, v61, v168 dst_sel:DWORD dst_unused:UNUSED_PAD src0_sel:DWORD src1_sel:WORD_0
	v_lshlrev_b32_sdwa v148, v61, v167 dst_sel:DWORD dst_unused:UNUSED_PAD src0_sel:DWORD src1_sel:BYTE_0
	v_add_co_ci_u32_e64 v17, s0, 0, v141, s1
	ds_write_b128 v165, v[56:59] offset:960
	v_add3_u32 v57, 0, v147, v101
	v_add3_u32 v59, 0, v92, v148
	ds_write_b128 v165, v[75:78] offset:1440
	ds_write_b128 v165, v[83:86] offset:1920
	;; [unrolled: 1-line block ×6, first 2 shown]
	ds_write_b128 v59, v[4:7]
	ds_write_b128 v59, v[102:105] offset:480
	ds_write_b128 v59, v[48:51] offset:960
	;; [unrolled: 1-line block ×9, first 2 shown]
	ds_write_b128 v57, v[12:15]
	ds_write_b128 v57, v[40:43] offset:480
	ds_write_b128 v57, v[116:119] offset:960
	;; [unrolled: 1-line block ×9, first 2 shown]
	s_waitcnt lgkmcnt(0)
	s_barrier
	buffer_gl0_inv
	s_clause 0x1
	global_load_dwordx4 v[0:3], v[145:146], off offset:656
	global_load_dwordx4 v[8:11], v[16:17], off offset:16
	v_add_co_u32 v18, s0, 0x1000, v140
	v_add_co_u32 v56, s1, 0x1290, v140
	;; [unrolled: 1-line block ×4, first 2 shown]
	v_add_co_ci_u32_e64 v19, s0, 0, v133, s0
	v_add_co_ci_u32_e64 v57, s1, 0, v133, s1
	v_mov_b32_e32 v156, v67
	global_load_dwordx4 v[12:15], v[18:19], off offset:656
	v_lshlrev_b32_e32 v155, 1, v137
	global_load_dwordx4 v[4:7], v[56:57], off offset:16
	v_add_co_u32 v58, s2, 0x1000, v135
	v_add_co_u32 v20, s3, 0x1290, v135
	v_lshlrev_b64 v[110:111], 4, v[155:156]
	v_add_co_ci_u32_e64 v59, s2, 0, v132, s2
	v_add_co_ci_u32_e64 v21, s2, 0, v132, s3
	;; [unrolled: 1-line block ×3, first 2 shown]
	global_load_dwordx4 v[16:19], v[58:59], off offset:656
	v_add_co_u32 v26, s4, s16, v110
	v_add_co_ci_u32_e64 v27, s2, s17, v111, s4
	v_add_co_ci_u32_e64 v33, s2, 0, v69, s6
	v_add_co_u32 v24, s2, 0x1000, v26
	v_add_co_ci_u32_e64 v25, s2, 0, v27, s2
	v_add_co_u32 v34, s2, 0x1290, v26
	v_add_co_ci_u32_e64 v35, s2, 0, v27, s2
	s_clause 0x3
	global_load_dwordx4 v[20:23], v[20:21], off offset:16
	global_load_dwordx4 v[24:27], v[24:25], off offset:656
	;; [unrolled: 1-line block ×4, first 2 shown]
	v_mul_lo_u16 v93, 0x12c, v134
	v_mov_b32_e32 v70, 5
	v_mul_lo_u16 v100, 0x12c, v149
	v_sub_nc_u16 v42, v142, v94
	v_sub_nc_u16 v43, v139, v95
	;; [unrolled: 1-line block ×3, first 2 shown]
	v_add_co_u32 v30, s0, 0x1000, v68
	v_sub_nc_u16 v44, v136, v100
	v_add_co_u32 v28, s1, 0x1290, v68
	v_lshlrev_b32_sdwa v45, v70, v145 dst_sel:DWORD dst_unused:UNUSED_PAD src0_sel:DWORD src1_sel:WORD_0
	v_add_co_ci_u32_e64 v31, s0, 0, v91, s0
	v_add_co_ci_u32_e64 v29, s0, 0, v91, s1
	v_and_b32_e32 v146, 0xffff, v42
	v_and_b32_e32 v147, 0xffff, v43
	;; [unrolled: 1-line block ×3, first 2 shown]
	v_add_co_u32 v46, s0, s16, v45
	global_load_dwordx4 v[42:45], v[32:33], off offset:16
	v_add_co_ci_u32_e64 v56, null, s17, 0, s0
	v_lshlrev_b32_e32 v52, 5, v146
	v_lshlrev_b32_e32 v55, 5, v148
	v_add_co_u32 v50, s0, 0x1000, v46
	v_add_co_ci_u32_e64 v51, s0, 0, v56, s0
	v_add_co_u32 v54, s1, 0x1290, v46
	v_add_co_u32 v58, s0, s16, v52
	v_lshlrev_b32_e32 v53, 5, v147
	v_add_co_u32 v80, s3, s16, v55
	v_add_co_ci_u32_e64 v59, null, s17, 0, s0
	v_add_co_ci_u32_e64 v55, s0, 0, v56, s1
	global_load_dwordx4 v[46:49], v[28:29], off offset:16
	v_add_co_u32 v76, s2, s16, v53
	s_clause 0x2
	global_load_dwordx4 v[50:53], v[50:51], off offset:656
	global_load_dwordx4 v[30:33], v[30:31], off offset:656
	;; [unrolled: 1-line block ×3, first 2 shown]
	v_add_co_u32 v28, s0, 0x1000, v58
	v_add_co_ci_u32_e64 v29, s0, 0, v59, s0
	v_add_co_u32 v58, s0, 0x1290, v58
	v_add_co_ci_u32_e64 v77, null, s17, 0, s2
	v_add_co_ci_u32_e64 v59, s0, 0, v59, s0
	global_load_dwordx4 v[68:71], v[28:29], off offset:656
	v_add_co_u32 v28, s0, 0x1000, v76
	global_load_dwordx4 v[72:75], v[58:59], off offset:16
	v_add_co_ci_u32_e64 v29, s0, 0, v77, s0
	v_add_co_u32 v58, s0, 0x1290, v76
	v_add_co_ci_u32_e64 v59, s0, 0, v77, s0
	global_load_dwordx4 v[76:79], v[28:29], off offset:656
	v_add_co_ci_u32_e64 v81, null, s17, 0, s3
	global_load_dwordx4 v[82:85], v[58:59], off offset:16
	v_add_co_u32 v28, s0, 0x1000, v80
	v_add_co_ci_u32_e64 v29, s0, 0, v81, s0
	v_add_co_u32 v58, s0, 0x1290, v80
	v_add_co_ci_u32_e64 v59, s0, 0, v81, s0
	s_clause 0x1
	global_load_dwordx4 v[86:89], v[28:29], off offset:656
	global_load_dwordx4 v[92:95], v[58:59], off offset:16
	ds_read_b128 v[96:99], v162 offset:14400
	ds_read_b128 v[100:103], v162 offset:28800
	;; [unrolled: 1-line block ×7, first 2 shown]
	v_cmp_lt_u32_e64 s0, 29, v60
	s_waitcnt vmcnt(19) lgkmcnt(6)
	v_mul_f64 v[28:29], v[98:99], v[2:3]
	v_mul_f64 v[2:3], v[96:97], v[2:3]
	s_waitcnt vmcnt(18) lgkmcnt(5)
	v_mul_f64 v[58:59], v[102:103], v[10:11]
	v_mul_f64 v[10:11], v[100:101], v[10:11]
	;; [unrolled: 3-line block ×4, first 2 shown]
	v_fma_f64 v[96:97], v[96:97], v[0:1], -v[28:29]
	v_fma_f64 v[98:99], v[98:99], v[0:1], v[2:3]
	ds_read_b128 v[0:3], v162 offset:33120
	v_fma_f64 v[58:59], v[100:101], v[8:9], -v[58:59]
	v_fma_f64 v[100:101], v[102:103], v[8:9], v[10:11]
	ds_read_b128 v[6:9], v162 offset:20160
	;; [unrolled: 3-line block ×3, first 2 shown]
	v_fma_f64 v[108:109], v[108:109], v[4:5], -v[90:91]
	v_fma_f64 v[110:111], v[110:111], v[4:5], v[124:125]
	s_waitcnt vmcnt(13) lgkmcnt(5)
	v_mul_f64 v[128:129], v[120:121], v[26:27]
	v_mul_f64 v[80:81], v[122:123], v[26:27]
	s_waitcnt vmcnt(11) lgkmcnt(2)
	v_mul_f64 v[4:5], v[2:3], v[36:37]
	v_mul_f64 v[36:37], v[0:1], v[36:37]
	s_waitcnt lgkmcnt(1)
	v_mul_f64 v[90:91], v[8:9], v[40:41]
	v_mul_f64 v[40:41], v[6:7], v[40:41]
	ds_read_b128 v[26:29], v162 offset:21600
	v_fma_f64 v[122:123], v[122:123], v[24:25], v[128:129]
	v_fma_f64 v[120:121], v[120:121], v[24:25], -v[80:81]
	v_fma_f64 v[128:129], v[0:1], v[34:35], -v[4:5]
	v_fma_f64 v[151:152], v[2:3], v[34:35], v[36:37]
	ds_read_b128 v[0:3], v162 offset:24480
	v_mul_f64 v[102:103], v[118:119], v[22:23]
	v_mul_f64 v[22:23], v[116:117], v[22:23]
	v_fma_f64 v[153:154], v[6:7], v[38:39], -v[90:91]
	ds_read_b128 v[4:7], v162 offset:38880
	v_mul_f64 v[126:127], v[114:115], v[18:19]
	v_mul_f64 v[18:19], v[112:113], v[18:19]
	v_fma_f64 v[155:156], v[8:9], v[38:39], v[40:41]
	v_fma_f64 v[130:131], v[116:117], v[20:21], -v[102:103]
	s_waitcnt vmcnt(10) lgkmcnt(3)
	v_mul_f64 v[102:103], v[12:13], v[44:45]
	v_mul_f64 v[44:45], v[10:11], v[44:45]
	v_fma_f64 v[149:150], v[118:119], v[20:21], v[22:23]
	v_fma_f64 v[112:113], v[112:113], v[16:17], -v[126:127]
	v_fma_f64 v[114:115], v[114:115], v[16:17], v[18:19]
	ds_read_b128 v[18:21], v162 offset:23040
	ds_read_b128 v[14:17], v162 offset:36000
	;; [unrolled: 1-line block ×3, first 2 shown]
	s_waitcnt vmcnt(7) lgkmcnt(5)
	v_mul_f64 v[80:81], v[28:29], v[32:33]
	v_mul_f64 v[116:117], v[26:27], v[32:33]
	v_fma_f64 v[157:158], v[10:11], v[42:43], -v[102:103]
	v_fma_f64 v[159:160], v[12:13], v[42:43], v[44:45]
	ds_read_b128 v[8:11], v162 offset:25920
	ds_read_b128 v[32:35], v162 offset:40320
	s_waitcnt lgkmcnt(4)
	v_mul_f64 v[40:41], v[18:19], v[52:53]
	s_waitcnt lgkmcnt(3)
	v_mul_f64 v[36:37], v[16:17], v[48:49]
	s_waitcnt vmcnt(6) lgkmcnt(2)
	v_mul_f64 v[42:43], v[24:25], v[56:57]
	v_mul_f64 v[48:49], v[14:15], v[48:49]
	;; [unrolled: 1-line block ×3, first 2 shown]
	v_fma_f64 v[163:164], v[26:27], v[30:31], -v[80:81]
	v_fma_f64 v[165:166], v[28:29], v[30:31], v[116:117]
	v_mul_f64 v[30:31], v[22:23], v[56:57]
	s_waitcnt vmcnt(5)
	v_mul_f64 v[44:45], v[2:3], v[70:71]
	ds_read_b128 v[26:29], v162 offset:27360
	v_fma_f64 v[173:174], v[20:21], v[50:51], v[40:41]
	v_fma_f64 v[167:168], v[14:15], v[46:47], -v[36:37]
	v_mul_f64 v[36:37], v[0:1], v[70:71]
	s_waitcnt vmcnt(4)
	v_mul_f64 v[20:21], v[4:5], v[74:75]
	s_waitcnt vmcnt(3) lgkmcnt(2)
	v_mul_f64 v[40:41], v[8:9], v[78:79]
	v_fma_f64 v[175:176], v[22:23], v[54:55], -v[42:43]
	s_waitcnt vmcnt(2) lgkmcnt(1)
	v_mul_f64 v[22:23], v[32:33], v[84:85]
	v_fma_f64 v[169:170], v[16:17], v[46:47], v[48:49]
	ds_read_b128 v[12:15], v162 offset:41760
	v_mul_f64 v[46:47], v[6:7], v[74:75]
	v_fma_f64 v[171:172], v[18:19], v[50:51], -v[38:39]
	ds_read_b128 v[16:19], v162
	v_mul_f64 v[38:39], v[10:11], v[78:79]
	v_mul_f64 v[48:49], v[34:35], v[84:85]
	v_fma_f64 v[177:178], v[24:25], v[54:55], v[30:31]
	v_fma_f64 v[116:117], v[0:1], v[68:69], -v[44:45]
	v_add_f64 v[42:43], v[98:99], v[100:101]
	v_add_f64 v[44:45], v[106:107], v[110:111]
	ds_read_b128 v[52:55], v162 offset:12960
	s_waitcnt vmcnt(1) lgkmcnt(3)
	v_mul_f64 v[24:25], v[28:29], v[88:89]
	v_mul_f64 v[30:31], v[26:27], v[88:89]
	v_add_f64 v[88:89], v[106:107], -v[110:111]
	v_fma_f64 v[124:125], v[2:3], v[68:69], v[36:37]
	v_fma_f64 v[126:127], v[6:7], v[72:73], v[20:21]
	;; [unrolled: 1-line block ×3, first 2 shown]
	v_add_f64 v[40:41], v[96:97], v[58:59]
	s_waitcnt vmcnt(0) lgkmcnt(2)
	v_mul_f64 v[36:37], v[14:15], v[94:95]
	v_mul_f64 v[20:21], v[12:13], v[94:95]
	v_fma_f64 v[90:91], v[34:35], v[82:83], v[22:23]
	s_waitcnt lgkmcnt(1)
	v_add_f64 v[22:23], v[18:19], v[98:99]
	v_add_f64 v[34:35], v[16:17], v[96:97]
	ds_read_b128 v[0:3], v162 offset:1440
	v_fma_f64 v[118:119], v[4:5], v[72:73], -v[46:47]
	ds_read_b128 v[4:7], v162 offset:2880
	v_fma_f64 v[68:69], v[8:9], v[76:77], -v[38:39]
	;; [unrolled: 2-line block ×3, first 2 shown]
	v_add_f64 v[32:33], v[104:105], v[108:109]
	v_fma_f64 v[18:19], v[42:43], -0.5, v[18:19]
	v_fma_f64 v[72:73], v[26:27], v[86:87], -v[24:25]
	v_fma_f64 v[74:75], v[28:29], v[86:87], v[30:31]
	v_add_f64 v[46:47], v[122:123], v[151:152]
	v_add_f64 v[86:87], v[96:97], -v[58:59]
	v_add_f64 v[28:29], v[120:121], v[128:129]
	ds_read_b128 v[48:51], v162 offset:7200
	v_add_f64 v[96:97], v[112:113], -v[130:131]
	v_fma_f64 v[16:17], v[40:41], -0.5, v[16:17]
	v_fma_f64 v[76:77], v[12:13], v[92:93], -v[36:37]
	v_fma_f64 v[78:79], v[14:15], v[92:93], v[20:21]
	ds_read_b128 v[36:39], v162 offset:5760
	s_waitcnt lgkmcnt(4)
	v_add_f64 v[24:25], v[2:3], v[106:107]
	v_add_f64 v[26:27], v[0:1], v[104:105]
	;; [unrolled: 1-line block ×3, first 2 shown]
	s_waitcnt lgkmcnt(3)
	v_add_f64 v[30:31], v[6:7], v[114:115]
	v_fma_f64 v[84:85], v[44:45], -0.5, v[2:3]
	s_waitcnt lgkmcnt(2)
	v_add_f64 v[2:3], v[10:11], v[122:123]
	v_add_f64 v[42:43], v[22:23], v[100:101]
	;; [unrolled: 1-line block ×4, first 2 shown]
	v_add_f64 v[20:21], v[98:99], -v[100:101]
	v_fma_f64 v[82:83], v[32:33], -0.5, v[0:1]
	v_add_f64 v[0:1], v[4:5], v[112:113]
	v_add_f64 v[98:99], v[122:123], -v[151:152]
	v_fma_f64 v[34:35], v[86:87], s[20:21], v[18:19]
	v_add_f64 v[22:23], v[8:9], v[120:121]
	v_fma_f64 v[100:101], v[28:29], -0.5, v[8:9]
	v_add_f64 v[106:107], v[120:121], -v[128:129]
	v_add_f64 v[120:121], v[155:156], v[159:160]
	v_add_f64 v[122:123], v[80:81], v[90:91]
	;; [unrolled: 1-line block ×4, first 2 shown]
	v_add_f64 v[24:25], v[104:105], -v[108:109]
	ds_read_b128 v[102:105], v162 offset:8640
	v_add_f64 v[26:27], v[114:115], -v[149:150]
	v_fma_f64 v[94:95], v[14:15], -0.5, v[6:7]
	v_fma_f64 v[108:109], v[46:47], -0.5, v[10:11]
	ds_read_b128 v[110:113], v162 offset:10080
	v_add_f64 v[46:47], v[30:31], v[149:150]
	v_add_f64 v[2:3], v[2:3], v[151:152]
	ds_read_b128 v[149:152], v162 offset:11520
	v_fma_f64 v[6:7], v[86:87], s[12:13], v[18:19]
	s_waitcnt lgkmcnt(0)
	s_barrier
	buffer_gl0_inv
	v_add_f64 v[86:87], v[163:164], v[167:168]
	ds_write_b128 v162, v[40:43]
	v_add_f64 v[40:41], v[165:166], v[169:170]
	v_fma_f64 v[92:93], v[12:13], -0.5, v[4:5]
	v_fma_f64 v[12:13], v[88:89], s[12:13], v[82:83]
	v_fma_f64 v[8:9], v[88:89], s[20:21], v[82:83]
	v_add_f64 v[42:43], v[38:39], v[155:156]
	v_add_f64 v[114:115], v[153:154], v[157:158]
	;; [unrolled: 1-line block ×4, first 2 shown]
	v_fma_f64 v[82:83], v[120:121], -0.5, v[38:39]
	v_fma_f64 v[32:33], v[20:21], s[12:13], v[16:17]
	v_fma_f64 v[22:23], v[96:97], s[20:21], v[94:95]
	;; [unrolled: 1-line block ×7, first 2 shown]
	v_add_f64 v[130:131], v[110:111], v[116:117]
	v_add_f64 v[128:129], v[112:113], v[124:125]
	v_fma_f64 v[28:29], v[98:99], s[12:13], v[100:101]
	v_fma_f64 v[24:25], v[98:99], s[20:21], v[100:101]
	v_fma_f64 v[88:89], v[86:87], -0.5, v[48:49]
	v_add_f64 v[100:101], v[153:154], -v[157:158]
	v_fma_f64 v[86:87], v[40:41], -0.5, v[50:51]
	v_add_f64 v[40:41], v[48:49], v[163:164]
	v_add_f64 v[48:49], v[171:172], v[175:176]
	v_fma_f64 v[20:21], v[26:27], s[12:13], v[92:93]
	v_add_f64 v[38:39], v[42:43], v[159:160]
	v_add_f64 v[42:43], v[173:174], v[177:178]
	v_fma_f64 v[16:17], v[26:27], s[20:21], v[92:93]
	v_fma_f64 v[26:27], v[106:107], s[12:13], v[108:109]
	v_fma_f64 v[84:85], v[114:115], -0.5, v[36:37]
	v_add_f64 v[106:107], v[50:51], v[165:166]
	v_add_f64 v[50:51], v[104:105], v[173:174]
	;; [unrolled: 1-line block ×6, first 2 shown]
	ds_write_b128 v162, v[56:59] offset:1440
	v_add_f64 v[56:57], v[130:131], v[118:119]
	v_add_f64 v[58:59], v[128:129], v[126:127]
	v_cndmask_b32_e64 v128, 0, 0x3840, s0
	v_lshlrev_b32_e32 v129, 4, v137
	v_add_f64 v[92:93], v[155:156], -v[159:160]
	v_add_f64 v[124:125], v[124:125], -v[126:127]
	;; [unrolled: 1-line block ×4, first 2 shown]
	v_fma_f64 v[96:97], v[48:49], -0.5, v[102:103]
	v_add_f64 v[48:49], v[102:103], v[171:172]
	v_add_f64 v[102:103], v[116:117], v[118:119]
	v_fma_f64 v[94:95], v[42:43], -0.5, v[104:105]
	v_add_f64 v[116:117], v[116:117], -v[118:119]
	v_add_f64 v[118:119], v[54:55], v[74:75]
	v_add_f64 v[155:156], v[74:75], -v[78:79]
	v_add_f64 v[42:43], v[106:107], v[169:170]
	v_add_f64 v[106:107], v[173:174], -v[177:178]
	ds_write_b128 v162, v[44:47] offset:2880
	v_add_f64 v[36:37], v[36:37], v[157:158]
	v_add3_u32 v157, 0, v128, v129
	v_lshlrev_b32_e32 v128, 1, v138
	v_mov_b32_e32 v129, v67
	v_fma_f64 v[46:47], v[100:101], s[20:21], v[82:83]
	v_fma_f64 v[74:75], v[100:101], s[12:13], v[82:83]
	v_add_f64 v[40:41], v[40:41], v[167:168]
	v_add_f64 v[50:51], v[50:51], v[177:178]
	v_lshlrev_b64 v[128:129], 4, v[128:129]
	v_fma_f64 v[44:45], v[92:93], s[12:13], v[84:85]
	v_mul_u32_u24_e32 v163, 0x3840, v134
	v_fma_f64 v[82:83], v[108:109], s[12:13], v[86:87]
	ds_write_b128 v162, v[32:35] offset:4800
	v_add_f64 v[48:49], v[48:49], v[175:176]
	v_fma_f64 v[104:105], v[102:103], -0.5, v[110:111]
	v_add_f64 v[110:111], v[68:69], v[70:71]
	v_fma_f64 v[102:103], v[114:115], -0.5, v[112:113]
	v_add_f64 v[114:115], v[171:172], -v[175:176]
	v_lshlrev_b32_sdwa v32, v61, v145 dst_sel:DWORD dst_unused:UNUSED_PAD src0_sel:DWORD src1_sel:WORD_0
	v_lshl_add_u32 v33, v146, 4, 0
	v_lshl_add_u32 v34, v147, 4, 0
	;; [unrolled: 1-line block ×3, first 2 shown]
	v_add_co_u32 v134, s2, 0x3800, v135
	v_add3_u32 v32, 0, v163, v32
	v_fma_f64 v[112:113], v[110:111], -0.5, v[149:150]
	v_fma_f64 v[110:111], v[122:123], -0.5, v[151:152]
	v_add_f64 v[122:123], v[149:150], v[68:69]
	v_add_f64 v[151:152], v[72:73], v[76:77]
	v_add_nc_u32_e32 v149, 0x2d0, v66
	v_mov_b32_e32 v150, v67
	v_add_nc_u32_e32 v66, 0x384, v66
	v_lshlrev_b64 v[130:131], 4, v[149:150]
	v_fma_f64 v[149:150], v[153:154], -0.5, v[54:55]
	v_add_f64 v[54:55], v[120:121], v[90:91]
	v_add_co_u32 v120, s0, 0x3810, v144
	v_lshlrev_b64 v[126:127], 4, v[66:67]
	v_lshlrev_b32_e32 v66, 1, v143
	v_add_co_ci_u32_e64 v121, s0, 0, v141, s0
	v_lshlrev_b64 v[153:154], 4, v[66:67]
	v_lshlrev_b32_e32 v66, 1, v142
	v_add_f64 v[142:143], v[80:81], -v[90:91]
	v_fma_f64 v[80:81], v[98:99], s[20:21], v[88:89]
	v_fma_f64 v[137:138], v[151:152], -0.5, v[52:53]
	v_add_f64 v[151:152], v[52:53], v[72:73]
	v_add_f64 v[52:53], v[122:123], v[70:71]
	v_add_co_u32 v122, s1, 0x3800, v144
	v_add_co_ci_u32_e64 v123, s0, 0, v141, s1
	v_add_co_u32 v144, s0, s16, v128
	v_add_co_ci_u32_e64 v158, s0, s17, v129, s0
	;; [unrolled: 2-line block ×4, first 2 shown]
	v_lshlrev_b64 v[126:127], 4, v[66:67]
	v_lshlrev_b32_e32 v66, 1, v139
	v_add_f64 v[128:129], v[68:69], -v[70:71]
	v_add_co_u32 v130, s0, 0x3800, v140
	v_add_f64 v[70:71], v[118:119], v[78:79]
	v_add_co_u32 v118, s1, 0x3810, v140
	v_add_f64 v[139:140], v[72:73], -v[76:77]
	v_fma_f64 v[72:73], v[92:93], s[20:21], v[84:85]
	v_add_f64 v[68:69], v[151:152], v[76:77]
	v_fma_f64 v[76:77], v[98:99], s[12:13], v[88:89]
	v_fma_f64 v[78:79], v[108:109], s[20:21], v[86:87]
	;; [unrolled: 1-line block ×12, first 2 shown]
	v_add_co_u32 v143, s9, 0x3810, v131
	v_fma_f64 v[102:103], v[128:129], s[20:21], v[110:111]
	v_fma_f64 v[106:107], v[128:129], s[12:13], v[110:111]
	;; [unrolled: 1-line block ×4, first 2 shown]
	v_add_co_u32 v141, s3, 0x3810, v135
	v_fma_f64 v[110:111], v[139:140], s[20:21], v[149:150]
	v_fma_f64 v[114:115], v[139:140], s[12:13], v[149:150]
	v_add_co_u32 v139, s8, 0x3800, v131
	v_add_co_ci_u32_e64 v131, s0, 0, v133, s0
	v_add_co_ci_u32_e64 v119, s0, 0, v133, s1
	ds_write_b128 v162, v[4:7] offset:9600
	ds_write_b128 v162, v[12:15] offset:6240
	;; [unrolled: 1-line block ×5, first 2 shown]
	ds_write_b128 v157, v[0:3]
	ds_write_b128 v157, v[28:31] offset:4800
	ds_write_b128 v157, v[24:27] offset:9600
	;; [unrolled: 1-line block ×8, first 2 shown]
	ds_write_b128 v32, v[48:51]
	ds_write_b128 v32, v[84:87] offset:4800
	ds_write_b128 v32, v[88:91] offset:9600
	;; [unrolled: 1-line block ×11, first 2 shown]
	s_waitcnt lgkmcnt(0)
	s_barrier
	buffer_gl0_inv
	s_clause 0x3
	global_load_dwordx4 v[4:7], v[122:123], off offset:16
	global_load_dwordx4 v[16:19], v[120:121], off offset:16
	;; [unrolled: 1-line block ×4, first 2 shown]
	v_add_co_ci_u32_e64 v135, s0, 0, v132, s2
	v_add_co_u32 v116, s4, 0x3800, v144
	v_add_co_u32 v124, s5, 0x3810, v144
	global_load_dwordx4 v[28:31], v[134:135], off offset:16
	v_add_co_u32 v128, s6, 0x3800, v159
	v_add_co_ci_u32_e64 v142, s0, 0, v132, s3
	v_add_co_ci_u32_e64 v117, s0, 0, v158, s4
	;; [unrolled: 1-line block ×4, first 2 shown]
	s_clause 0x3
	global_load_dwordx4 v[32:35], v[116:117], off offset:16
	global_load_dwordx4 v[12:15], v[141:142], off offset:16
	;; [unrolled: 1-line block ×4, first 2 shown]
	v_add_co_u32 v137, s7, 0x3810, v159
	v_add_co_ci_u32_e64 v138, s0, 0, v160, s7
	v_add_co_u32 v61, s10, s16, v153
	v_add_co_ci_u32_e64 v8, s0, s17, v154, s10
	v_lshlrev_b64 v[0:1], 4, v[66:67]
	v_add_co_ci_u32_e64 v140, s0, 0, v161, s8
	v_add_co_ci_u32_e64 v144, s0, 0, v161, s9
	s_clause 0x1
	global_load_dwordx4 v[44:47], v[137:138], off offset:16
	global_load_dwordx4 v[48:51], v[139:140], off offset:16
	v_add_co_u32 v2, s0, 0x3800, v61
	v_add_co_u32 v56, s1, 0x3810, v61
	;; [unrolled: 1-line block ×3, first 2 shown]
	v_add_co_ci_u32_e64 v3, s0, 0, v8, s0
	v_add_co_ci_u32_e64 v57, s0, 0, v8, s1
	;; [unrolled: 1-line block ×3, first 2 shown]
	v_add_co_u32 v58, s0, s16, v0
	v_lshlrev_b32_e32 v66, 1, v136
	v_add_co_ci_u32_e64 v61, s0, s17, v1, s0
	v_add_co_u32 v0, s0, 0x3800, v58
	v_lshlrev_b64 v[71:72], 4, v[66:67]
	v_add_co_ci_u32_e64 v1, s0, 0, v61, s0
	v_add_co_u32 v68, s1, 0x3800, v9
	v_add_co_u32 v73, s2, 0x3810, v9
	v_add_co_ci_u32_e64 v69, s1, 0, v52, s1
	v_add_co_ci_u32_e64 v74, s1, 0, v52, s2
	s_clause 0x1
	global_load_dwordx4 v[52:55], v[2:3], off offset:16
	global_load_dwordx4 v[76:79], v[0:1], off offset:16
	v_add_co_u32 v2, s1, 0x3810, v58
	v_add_co_u32 v66, s2, s16, v71
	v_add_co_ci_u32_e64 v3, s0, 0, v61, s1
	v_add_co_ci_u32_e64 v61, s0, s17, v72, s2
	v_add_co_u32 v84, s0, 0x3800, v66
	global_load_dwordx4 v[8:11], v[143:144], off offset:16
	v_add_co_ci_u32_e64 v85, s0, 0, v61, s0
	v_add_co_u32 v0, s0, 0x3810, v66
	v_add_co_ci_u32_e64 v1, s0, 0, v61, s0
	s_clause 0x5
	global_load_dwordx4 v[56:59], v[56:57], off offset:16
	global_load_dwordx4 v[80:83], v[2:3], off offset:16
	;; [unrolled: 1-line block ×6, first 2 shown]
	ds_read_b128 v[92:95], v162 offset:14400
	ds_read_b128 v[96:99], v162 offset:28800
	;; [unrolled: 1-line block ×11, first 2 shown]
	s_waitcnt vmcnt(19) lgkmcnt(10)
	v_mul_f64 v[132:133], v[94:95], v[6:7]
	v_mul_f64 v[6:7], v[92:93], v[6:7]
	s_waitcnt vmcnt(18) lgkmcnt(9)
	v_mul_f64 v[134:135], v[98:99], v[18:19]
	s_waitcnt vmcnt(17) lgkmcnt(8)
	;; [unrolled: 2-line block ×3, first 2 shown]
	v_mul_f64 v[138:139], v[106:107], v[26:27]
	v_mul_f64 v[18:19], v[96:97], v[18:19]
	;; [unrolled: 1-line block ×4, first 2 shown]
	s_waitcnt vmcnt(15) lgkmcnt(6)
	v_mul_f64 v[140:141], v[110:111], v[30:31]
	v_mul_f64 v[30:31], v[108:109], v[30:31]
	v_fma_f64 v[132:133], v[92:93], v[4:5], -v[132:133]
	v_fma_f64 v[142:143], v[94:95], v[4:5], v[6:7]
	s_waitcnt vmcnt(13) lgkmcnt(5)
	v_mul_f64 v[92:93], v[114:115], v[14:15]
	v_mul_f64 v[94:95], v[112:113], v[14:15]
	ds_read_b128 v[4:7], v162 offset:21600
	v_fma_f64 v[96:97], v[96:97], v[16:17], -v[134:135]
	s_waitcnt lgkmcnt(5)
	v_mul_f64 v[134:135], v[118:119], v[34:35]
	v_mul_f64 v[34:35], v[116:117], v[34:35]
	v_fma_f64 v[100:101], v[100:101], v[20:21], -v[136:137]
	s_waitcnt vmcnt(12) lgkmcnt(4)
	v_mul_f64 v[136:137], v[122:123], v[38:39]
	v_mul_f64 v[38:39], v[120:121], v[38:39]
	v_fma_f64 v[104:105], v[104:105], v[24:25], -v[138:139]
	s_waitcnt vmcnt(11) lgkmcnt(2)
	v_mul_f64 v[138:139], v[126:127], v[42:43]
	v_mul_f64 v[42:43], v[124:125], v[42:43]
	v_fma_f64 v[108:109], v[108:109], v[28:29], -v[140:141]
	v_fma_f64 v[98:99], v[98:99], v[16:17], v[18:19]
	ds_read_b128 v[14:17], v162 offset:23040
	s_waitcnt vmcnt(10) lgkmcnt(2)
	v_mul_f64 v[140:141], v[130:131], v[46:47]
	v_mul_f64 v[46:47], v[128:129], v[46:47]
	v_fma_f64 v[102:103], v[102:103], v[20:21], v[22:23]
	ds_read_b128 v[18:21], v162 offset:36000
	v_fma_f64 v[106:107], v[106:107], v[24:25], v[26:27]
	ds_read_b128 v[22:25], v162 offset:37440
	v_fma_f64 v[110:111], v[110:111], v[28:29], v[30:31]
	v_fma_f64 v[112:113], v[112:113], v[12:13], -v[92:93]
	v_fma_f64 v[114:115], v[114:115], v[12:13], v[94:95]
	s_waitcnt vmcnt(9) lgkmcnt(3)
	v_mul_f64 v[12:13], v[6:7], v[50:51]
	v_mul_f64 v[50:51], v[4:5], v[50:51]
	ds_read_b128 v[26:29], v162 offset:24480
	ds_read_b128 v[92:95], v162 offset:25920
	v_fma_f64 v[116:117], v[116:117], v[32:33], -v[134:135]
	v_fma_f64 v[118:119], v[118:119], v[32:33], v[34:35]
	ds_read_b128 v[30:33], v162 offset:38880
	v_fma_f64 v[120:121], v[120:121], v[36:37], -v[136:137]
	v_fma_f64 v[122:123], v[122:123], v[36:37], v[38:39]
	;; [unrolled: 3-line block ×4, first 2 shown]
	ds_read_b128 v[42:45], v162 offset:41760
	s_waitcnt vmcnt(8) lgkmcnt(8)
	v_mul_f64 v[136:137], v[16:17], v[54:55]
	v_mul_f64 v[54:55], v[14:15], v[54:55]
	v_fma_f64 v[146:147], v[6:7], v[48:49], v[50:51]
	s_waitcnt vmcnt(7) lgkmcnt(4)
	v_mul_f64 v[150:151], v[94:95], v[78:79]
	v_mul_f64 v[78:79], v[92:93], v[78:79]
	v_fma_f64 v[144:145], v[4:5], v[48:49], -v[12:13]
	ds_read_b128 v[46:49], v162
	s_waitcnt vmcnt(6)
	v_mul_f64 v[134:135], v[20:21], v[10:11]
	v_mul_f64 v[10:11], v[18:19], v[10:11]
	s_waitcnt vmcnt(5)
	v_mul_f64 v[138:139], v[24:25], v[58:59]
	s_waitcnt vmcnt(4) lgkmcnt(3)
	v_mul_f64 v[152:153], v[36:37], v[82:83]
	v_mul_f64 v[82:83], v[34:35], v[82:83]
	s_waitcnt vmcnt(2)
	v_mul_f64 v[50:51], v[32:33], v[74:75]
	v_mul_f64 v[74:75], v[30:31], v[74:75]
	s_waitcnt vmcnt(1) lgkmcnt(2)
	v_mul_f64 v[156:157], v[40:41], v[86:87]
	v_mul_f64 v[58:59], v[22:23], v[58:59]
	;; [unrolled: 1-line block ×4, first 2 shown]
	s_waitcnt vmcnt(0) lgkmcnt(1)
	v_mul_f64 v[158:159], v[44:45], v[90:91]
	v_mul_f64 v[90:91], v[42:43], v[90:91]
	v_fma_f64 v[136:137], v[14:15], v[52:53], -v[136:137]
	v_fma_f64 v[154:155], v[16:17], v[52:53], v[54:55]
	ds_read_b128 v[12:15], v162 offset:1440
	v_mul_f64 v[70:71], v[26:27], v[70:71]
	v_fma_f64 v[134:135], v[18:19], v[8:9], -v[134:135]
	ds_read_b128 v[16:19], v162 offset:2880
	v_fma_f64 v[148:149], v[20:21], v[8:9], v[10:11]
	v_fma_f64 v[138:139], v[22:23], v[56:57], -v[138:139]
	v_fma_f64 v[8:9], v[30:31], v[72:73], -v[50:51]
	v_fma_f64 v[10:11], v[32:33], v[72:73], v[74:75]
	v_fma_f64 v[72:73], v[92:93], v[76:77], -v[150:151]
	v_fma_f64 v[74:75], v[94:95], v[76:77], v[78:79]
	v_fma_f64 v[76:77], v[34:35], v[80:81], -v[152:153]
	v_fma_f64 v[78:79], v[36:37], v[80:81], v[82:83]
	v_add_f64 v[32:33], v[132:133], v[96:97]
	v_add_f64 v[34:35], v[142:143], v[98:99]
	v_fma_f64 v[80:81], v[38:39], v[84:85], -v[156:157]
	s_waitcnt lgkmcnt(2)
	v_add_f64 v[36:37], v[48:49], v[142:143]
	v_add_f64 v[38:39], v[46:47], v[132:133]
	v_fma_f64 v[58:59], v[24:25], v[56:57], v[58:59]
	v_fma_f64 v[4:5], v[26:27], v[68:69], -v[140:141]
	ds_read_b128 v[20:23], v162 offset:4320
	ds_read_b128 v[24:27], v162 offset:5760
	v_fma_f64 v[40:41], v[40:41], v[84:85], v[86:87]
	v_fma_f64 v[42:43], v[42:43], v[88:89], -v[158:159]
	v_fma_f64 v[44:45], v[44:45], v[88:89], v[90:91]
	v_add_f64 v[82:83], v[142:143], -v[98:99]
	v_add_f64 v[84:85], v[132:133], -v[96:97]
	v_add_f64 v[86:87], v[100:101], v[104:105]
	v_add_f64 v[88:89], v[102:103], v[106:107]
	s_waitcnt lgkmcnt(3)
	v_add_f64 v[90:91], v[14:15], v[102:103]
	v_add_f64 v[92:93], v[12:13], v[100:101]
	v_add_f64 v[94:95], v[102:103], -v[106:107]
	v_add_f64 v[102:103], v[108:109], v[112:113]
	v_add_f64 v[132:133], v[110:111], v[114:115]
	s_waitcnt lgkmcnt(2)
	v_add_f64 v[140:141], v[18:19], v[110:111]
	v_add_f64 v[142:143], v[16:17], v[108:109]
	;; [unrolled: 1-line block ×4, first 2 shown]
	v_fma_f64 v[6:7], v[28:29], v[68:69], v[70:71]
	ds_read_b128 v[28:31], v162 offset:7200
	ds_read_b128 v[50:53], v162 offset:8640
	v_fma_f64 v[46:47], v[32:33], -0.5, v[46:47]
	v_fma_f64 v[48:49], v[34:35], -0.5, v[48:49]
	v_add_f64 v[34:35], v[36:37], v[98:99]
	v_add_f64 v[32:33], v[38:39], v[96:97]
	s_waitcnt lgkmcnt(3)
	v_add_f64 v[36:37], v[22:23], v[118:119]
	v_add_f64 v[38:39], v[20:21], v[116:117]
	v_add_f64 v[100:101], v[100:101], -v[104:105]
	v_add_f64 v[110:111], v[110:111], -v[114:115]
	;; [unrolled: 1-line block ×5, first 2 shown]
	v_fma_f64 v[86:87], v[86:87], -0.5, v[12:13]
	v_fma_f64 v[88:89], v[88:89], -0.5, v[14:15]
	v_add_f64 v[116:117], v[124:125], v[128:129]
	v_add_f64 v[118:119], v[126:127], v[130:131]
	;; [unrolled: 1-line block ×4, first 2 shown]
	s_waitcnt lgkmcnt(2)
	v_add_f64 v[90:91], v[26:27], v[126:127]
	v_add_f64 v[92:93], v[24:25], v[124:125]
	v_add_f64 v[104:105], v[126:127], -v[130:131]
	v_add_f64 v[106:107], v[124:125], -v[128:129]
	v_fma_f64 v[102:103], v[102:103], -0.5, v[16:17]
	v_fma_f64 v[124:125], v[132:133], -0.5, v[18:19]
	v_add_f64 v[126:127], v[144:145], v[134:135]
	v_add_f64 v[132:133], v[146:147], v[148:149]
	;; [unrolled: 1-line block ×4, first 2 shown]
	s_waitcnt lgkmcnt(1)
	v_add_f64 v[112:113], v[30:31], v[146:147]
	v_add_f64 v[114:115], v[28:29], v[144:145]
	v_add_f64 v[140:141], v[146:147], -v[148:149]
	v_add_f64 v[142:143], v[144:145], -v[134:135]
	v_fma_f64 v[144:145], v[150:151], -0.5, v[20:21]
	v_fma_f64 v[146:147], v[152:153], -0.5, v[22:23]
	v_add_f64 v[150:151], v[136:137], v[138:139]
	v_add_f64 v[152:153], v[154:155], v[58:59]
	;; [unrolled: 1-line block ×4, first 2 shown]
	s_waitcnt lgkmcnt(0)
	v_add_f64 v[36:37], v[52:53], v[154:155]
	v_add_f64 v[120:121], v[50:51], v[136:137]
	ds_read_b128 v[54:57], v162 offset:10080
	ds_read_b128 v[68:71], v162 offset:11520
	v_add_f64 v[122:123], v[154:155], -v[58:59]
	v_fma_f64 v[116:117], v[116:117], -0.5, v[24:25]
	v_fma_f64 v[118:119], v[118:119], -0.5, v[26:27]
	v_add_f64 v[154:155], v[4:5], v[8:9]
	v_add_f64 v[156:157], v[6:7], v[10:11]
	;; [unrolled: 1-line block ×4, first 2 shown]
	v_fma_f64 v[126:127], v[126:127], -0.5, v[28:29]
	v_fma_f64 v[128:129], v[132:133], -0.5, v[30:31]
	v_add_f64 v[130:131], v[72:73], v[76:77]
	v_add_f64 v[132:133], v[74:75], v[78:79]
	;; [unrolled: 1-line block ×4, first 2 shown]
	v_add_f64 v[136:137], v[136:137], -v[138:139]
	v_add_f64 v[158:159], v[72:73], -v[76:77]
	v_fma_f64 v[134:135], v[150:151], -0.5, v[50:51]
	v_fma_f64 v[148:149], v[152:153], -0.5, v[52:53]
	v_add_f64 v[50:51], v[80:81], v[42:43]
	v_add_f64 v[52:53], v[40:41], v[44:45]
	s_waitcnt lgkmcnt(1)
	v_add_f64 v[90:91], v[56:57], v[6:7]
	v_add_f64 v[92:93], v[54:55], v[4:5]
	s_waitcnt lgkmcnt(0)
	v_add_f64 v[112:113], v[70:71], v[74:75]
	v_add_f64 v[114:115], v[68:69], v[72:73]
	;; [unrolled: 1-line block ×6, first 2 shown]
	v_add_f64 v[138:139], v[6:7], -v[10:11]
	v_add_f64 v[150:151], v[4:5], -v[8:9]
	;; [unrolled: 1-line block ×5, first 2 shown]
	v_fma_f64 v[154:155], v[154:155], -0.5, v[54:55]
	v_fma_f64 v[156:157], v[156:157], -0.5, v[56:57]
	;; [unrolled: 1-line block ×4, first 2 shown]
	v_fma_f64 v[40:41], v[82:83], s[12:13], v[46:47]
	v_fma_f64 v[54:55], v[100:101], s[12:13], v[88:89]
	;; [unrolled: 1-line block ×3, first 2 shown]
	v_fma_f64 v[165:166], v[50:51], -0.5, v[0:1]
	v_fma_f64 v[167:168], v[52:53], -0.5, v[2:3]
	v_add_f64 v[6:7], v[90:91], v[10:11]
	v_add_f64 v[4:5], v[92:93], v[8:9]
	v_add_f64 v[10:11], v[112:113], v[78:79]
	v_add_f64 v[8:9], v[114:115], v[76:77]
	v_fma_f64 v[50:51], v[100:101], s[20:21], v[88:89]
	v_fma_f64 v[52:53], v[94:95], s[20:21], v[86:87]
	v_add_f64 v[2:3], v[58:59], v[44:45]
	v_add_f64 v[0:1], v[120:121], v[42:43]
	v_fma_f64 v[42:43], v[84:85], s[20:21], v[48:49]
	v_fma_f64 v[44:45], v[82:83], s[20:21], v[46:47]
	;; [unrolled: 1-line block ×19, first 2 shown]
	s_barrier
	buffer_gl0_inv
	v_fma_f64 v[96:97], v[122:123], s[12:13], v[134:135]
	v_fma_f64 v[100:101], v[122:123], s[20:21], v[134:135]
	;; [unrolled: 1-line block ×16, first 2 shown]
	ds_write_b128 v162, v[32:35]
	ds_write_b128 v162, v[12:15] offset:1440
	ds_write_b128 v162, v[16:19] offset:2880
	;; [unrolled: 1-line block ×29, first 2 shown]
	s_waitcnt lgkmcnt(0)
	s_barrier
	buffer_gl0_inv
	s_and_saveexec_b32 s0, vcc_lo
	s_cbranch_execz .LBB0_21
; %bb.20:
	v_mul_lo_u32 v2, s19, v64
	v_mul_lo_u32 v3, s18, v65
	v_mad_u64_u32 v[0:1], null, s18, v64, 0
	v_lshl_add_u32 v30, v60, 4, 0
	v_mov_b32_e32 v61, v67
	v_lshlrev_b64 v[8:9], 4, v[62:63]
	v_add_nc_u32_e32 v66, 0x5a, v60
	v_add3_u32 v1, v1, v3, v2
	v_lshlrev_b64 v[10:11], 4, v[60:61]
	v_lshlrev_b64 v[14:15], 4, v[66:67]
	v_add_nc_u32_e32 v66, 0xb4, v60
	v_lshlrev_b64 v[12:13], 4, v[0:1]
	ds_read_b128 v[0:3], v30
	ds_read_b128 v[4:7], v30 offset:41760
	v_lshlrev_b64 v[20:21], 4, v[66:67]
	v_add_nc_u32_e32 v66, 0x10e, v60
	v_add_co_u32 v12, vcc_lo, s14, v12
	v_add_co_ci_u32_e32 v13, vcc_lo, s15, v13, vcc_lo
	v_lshlrev_b64 v[24:25], 4, v[66:67]
	v_add_co_u32 v31, vcc_lo, v12, v8
	v_add_co_ci_u32_e32 v32, vcc_lo, v13, v9, vcc_lo
	v_add_nc_u32_e32 v66, 0x168, v60
	v_add_co_u32 v8, vcc_lo, v31, v10
	v_add_co_ci_u32_e32 v9, vcc_lo, v32, v11, vcc_lo
	v_add_co_u32 v22, vcc_lo, v31, v14
	v_add_co_ci_u32_e32 v23, vcc_lo, v32, v15, vcc_lo
	s_waitcnt lgkmcnt(1)
	global_store_dwordx4 v[8:9], v[0:3], off
	ds_read_b128 v[0:3], v30 offset:1440
	ds_read_b128 v[8:11], v30 offset:2880
	;; [unrolled: 1-line block ×4, first 2 shown]
	v_add_co_u32 v20, vcc_lo, v31, v20
	v_lshlrev_b64 v[26:27], 4, v[66:67]
	v_add_nc_u32_e32 v66, 0x1c2, v60
	v_add_co_ci_u32_e32 v21, vcc_lo, v32, v21, vcc_lo
	v_add_co_u32 v24, vcc_lo, v31, v24
	v_add_co_ci_u32_e32 v25, vcc_lo, v32, v25, vcc_lo
	v_add_co_u32 v26, vcc_lo, v31, v26
	v_lshlrev_b64 v[28:29], 4, v[66:67]
	v_add_nc_u32_e32 v66, 0x21c, v60
	v_add_co_ci_u32_e32 v27, vcc_lo, v32, v27, vcc_lo
	s_waitcnt lgkmcnt(3)
	global_store_dwordx4 v[22:23], v[0:3], off
	s_waitcnt lgkmcnt(2)
	global_store_dwordx4 v[20:21], v[8:11], off
	;; [unrolled: 2-line block ×4, first 2 shown]
	v_lshlrev_b64 v[20:21], 4, v[66:67]
	v_add_nc_u32_e32 v66, 0x276, v60
	ds_read_b128 v[0:3], v30 offset:7200
	ds_read_b128 v[8:11], v30 offset:8640
	ds_read_b128 v[12:15], v30 offset:10080
	ds_read_b128 v[16:19], v30 offset:11520
	v_add_co_u32 v22, vcc_lo, v31, v28
	v_lshlrev_b64 v[24:25], 4, v[66:67]
	v_add_nc_u32_e32 v66, 0x2d0, v60
	v_add_co_ci_u32_e32 v23, vcc_lo, v32, v29, vcc_lo
	v_add_co_u32 v20, vcc_lo, v31, v20
	v_lshlrev_b64 v[26:27], 4, v[66:67]
	v_add_nc_u32_e32 v66, 0x32a, v60
	v_add_co_ci_u32_e32 v21, vcc_lo, v32, v21, vcc_lo
	v_add_co_u32 v24, vcc_lo, v31, v24
	v_add_co_ci_u32_e32 v25, vcc_lo, v32, v25, vcc_lo
	v_add_co_u32 v26, vcc_lo, v31, v26
	v_lshlrev_b64 v[28:29], 4, v[66:67]
	v_add_nc_u32_e32 v66, 0x384, v60
	v_add_co_ci_u32_e32 v27, vcc_lo, v32, v27, vcc_lo
	s_waitcnt lgkmcnt(3)
	global_store_dwordx4 v[22:23], v[0:3], off
	s_waitcnt lgkmcnt(2)
	global_store_dwordx4 v[20:21], v[8:11], off
	s_waitcnt lgkmcnt(1)
	global_store_dwordx4 v[24:25], v[12:15], off
	s_waitcnt lgkmcnt(0)
	global_store_dwordx4 v[26:27], v[16:19], off
	ds_read_b128 v[0:3], v30 offset:12960
	ds_read_b128 v[8:11], v30 offset:14400
	v_lshlrev_b64 v[20:21], 4, v[66:67]
	v_add_nc_u32_e32 v66, 0x3de, v60
	ds_read_b128 v[12:15], v30 offset:15840
	ds_read_b128 v[16:19], v30 offset:17280
	v_add_co_u32 v22, vcc_lo, v31, v28
	v_add_co_ci_u32_e32 v23, vcc_lo, v32, v29, vcc_lo
	v_lshlrev_b64 v[24:25], 4, v[66:67]
	v_add_nc_u32_e32 v66, 0x438, v60
	v_add_co_u32 v20, vcc_lo, v31, v20
	v_add_co_ci_u32_e32 v21, vcc_lo, v32, v21, vcc_lo
	v_lshlrev_b64 v[26:27], 4, v[66:67]
	v_add_nc_u32_e32 v66, 0x492, v60
	v_add_co_u32 v24, vcc_lo, v31, v24
	v_add_co_ci_u32_e32 v25, vcc_lo, v32, v25, vcc_lo
	v_add_co_u32 v26, vcc_lo, v31, v26
	v_lshlrev_b64 v[28:29], 4, v[66:67]
	v_add_nc_u32_e32 v66, 0x4ec, v60
	v_add_co_ci_u32_e32 v27, vcc_lo, v32, v27, vcc_lo
	s_waitcnt lgkmcnt(3)
	global_store_dwordx4 v[22:23], v[0:3], off
	s_waitcnt lgkmcnt(2)
	global_store_dwordx4 v[20:21], v[8:11], off
	s_waitcnt lgkmcnt(1)
	global_store_dwordx4 v[24:25], v[12:15], off
	s_waitcnt lgkmcnt(0)
	global_store_dwordx4 v[26:27], v[16:19], off
	ds_read_b128 v[0:3], v30 offset:18720
	ds_read_b128 v[8:11], v30 offset:20160
	v_lshlrev_b64 v[20:21], 4, v[66:67]
	v_add_nc_u32_e32 v66, 0x546, v60
	ds_read_b128 v[12:15], v30 offset:21600
	ds_read_b128 v[16:19], v30 offset:23040
	v_add_co_u32 v22, vcc_lo, v31, v28
	v_add_co_ci_u32_e32 v23, vcc_lo, v32, v29, vcc_lo
	v_lshlrev_b64 v[24:25], 4, v[66:67]
	v_add_nc_u32_e32 v66, 0x5a0, v60
	v_add_co_u32 v20, vcc_lo, v31, v20
	v_add_co_ci_u32_e32 v21, vcc_lo, v32, v21, vcc_lo
	v_lshlrev_b64 v[26:27], 4, v[66:67]
	v_add_nc_u32_e32 v66, 0x5fa, v60
	;; [unrolled: 28-line block ×4, first 2 shown]
	v_add_co_u32 v24, vcc_lo, v31, v24
	v_add_co_ci_u32_e32 v25, vcc_lo, v32, v25, vcc_lo
	v_lshlrev_b64 v[28:29], 4, v[66:67]
	v_add_nc_u32_e32 v66, 0x924, v60
	v_add_co_u32 v26, vcc_lo, v31, v26
	v_add_co_ci_u32_e32 v27, vcc_lo, v32, v27, vcc_lo
	s_waitcnt lgkmcnt(3)
	global_store_dwordx4 v[22:23], v[0:3], off
	s_waitcnt lgkmcnt(2)
	global_store_dwordx4 v[20:21], v[8:11], off
	;; [unrolled: 2-line block ×4, first 2 shown]
	v_lshlrev_b64 v[20:21], 4, v[66:67]
	v_add_nc_u32_e32 v66, 0x97e, v60
	ds_read_b128 v[0:3], v30 offset:36000
	ds_read_b128 v[8:11], v30 offset:37440
	;; [unrolled: 1-line block ×4, first 2 shown]
	v_add_co_u32 v22, vcc_lo, v31, v28
	v_lshlrev_b64 v[24:25], 4, v[66:67]
	v_add_nc_u32_e32 v66, 0x9d8, v60
	v_add_co_ci_u32_e32 v23, vcc_lo, v32, v29, vcc_lo
	v_add_co_u32 v20, vcc_lo, v31, v20
	v_lshlrev_b64 v[26:27], 4, v[66:67]
	v_add_nc_u32_e32 v66, 0xa32, v60
	v_add_co_ci_u32_e32 v21, vcc_lo, v32, v21, vcc_lo
	v_add_co_u32 v24, vcc_lo, v31, v24
	v_lshlrev_b64 v[28:29], 4, v[66:67]
	v_add_co_ci_u32_e32 v25, vcc_lo, v32, v25, vcc_lo
	v_add_co_u32 v26, vcc_lo, v31, v26
	v_add_co_ci_u32_e32 v27, vcc_lo, v32, v27, vcc_lo
	v_add_co_u32 v28, vcc_lo, v31, v28
	v_add_co_ci_u32_e32 v29, vcc_lo, v32, v29, vcc_lo
	s_waitcnt lgkmcnt(3)
	global_store_dwordx4 v[22:23], v[0:3], off
	s_waitcnt lgkmcnt(2)
	global_store_dwordx4 v[20:21], v[8:11], off
	;; [unrolled: 2-line block ×4, first 2 shown]
	global_store_dwordx4 v[28:29], v[4:7], off
.LBB0_21:
	s_endpgm
	.section	.rodata,"a",@progbits
	.p2align	6, 0x0
	.amdhsa_kernel fft_rtc_fwd_len2700_factors_3_10_10_3_3_wgs_90_tpt_90_halfLds_dp_op_CI_CI_unitstride_sbrr_C2R_dirReg
		.amdhsa_group_segment_fixed_size 0
		.amdhsa_private_segment_fixed_size 0
		.amdhsa_kernarg_size 104
		.amdhsa_user_sgpr_count 6
		.amdhsa_user_sgpr_private_segment_buffer 1
		.amdhsa_user_sgpr_dispatch_ptr 0
		.amdhsa_user_sgpr_queue_ptr 0
		.amdhsa_user_sgpr_kernarg_segment_ptr 1
		.amdhsa_user_sgpr_dispatch_id 0
		.amdhsa_user_sgpr_flat_scratch_init 0
		.amdhsa_user_sgpr_private_segment_size 0
		.amdhsa_wavefront_size32 1
		.amdhsa_uses_dynamic_stack 0
		.amdhsa_system_sgpr_private_segment_wavefront_offset 0
		.amdhsa_system_sgpr_workgroup_id_x 1
		.amdhsa_system_sgpr_workgroup_id_y 0
		.amdhsa_system_sgpr_workgroup_id_z 0
		.amdhsa_system_sgpr_workgroup_info 0
		.amdhsa_system_vgpr_workitem_id 0
		.amdhsa_next_free_vgpr 247
		.amdhsa_next_free_sgpr 27
		.amdhsa_reserve_vcc 1
		.amdhsa_reserve_flat_scratch 0
		.amdhsa_float_round_mode_32 0
		.amdhsa_float_round_mode_16_64 0
		.amdhsa_float_denorm_mode_32 3
		.amdhsa_float_denorm_mode_16_64 3
		.amdhsa_dx10_clamp 1
		.amdhsa_ieee_mode 1
		.amdhsa_fp16_overflow 0
		.amdhsa_workgroup_processor_mode 1
		.amdhsa_memory_ordered 1
		.amdhsa_forward_progress 0
		.amdhsa_shared_vgpr_count 0
		.amdhsa_exception_fp_ieee_invalid_op 0
		.amdhsa_exception_fp_denorm_src 0
		.amdhsa_exception_fp_ieee_div_zero 0
		.amdhsa_exception_fp_ieee_overflow 0
		.amdhsa_exception_fp_ieee_underflow 0
		.amdhsa_exception_fp_ieee_inexact 0
		.amdhsa_exception_int_div_zero 0
	.end_amdhsa_kernel
	.text
.Lfunc_end0:
	.size	fft_rtc_fwd_len2700_factors_3_10_10_3_3_wgs_90_tpt_90_halfLds_dp_op_CI_CI_unitstride_sbrr_C2R_dirReg, .Lfunc_end0-fft_rtc_fwd_len2700_factors_3_10_10_3_3_wgs_90_tpt_90_halfLds_dp_op_CI_CI_unitstride_sbrr_C2R_dirReg
                                        ; -- End function
	.section	.AMDGPU.csdata,"",@progbits
; Kernel info:
; codeLenInByte = 26208
; NumSgprs: 29
; NumVgprs: 247
; ScratchSize: 0
; MemoryBound: 0
; FloatMode: 240
; IeeeMode: 1
; LDSByteSize: 0 bytes/workgroup (compile time only)
; SGPRBlocks: 3
; VGPRBlocks: 30
; NumSGPRsForWavesPerEU: 29
; NumVGPRsForWavesPerEU: 247
; Occupancy: 4
; WaveLimiterHint : 1
; COMPUTE_PGM_RSRC2:SCRATCH_EN: 0
; COMPUTE_PGM_RSRC2:USER_SGPR: 6
; COMPUTE_PGM_RSRC2:TRAP_HANDLER: 0
; COMPUTE_PGM_RSRC2:TGID_X_EN: 1
; COMPUTE_PGM_RSRC2:TGID_Y_EN: 0
; COMPUTE_PGM_RSRC2:TGID_Z_EN: 0
; COMPUTE_PGM_RSRC2:TIDIG_COMP_CNT: 0
	.text
	.p2alignl 6, 3214868480
	.fill 48, 4, 3214868480
	.type	__hip_cuid_f330c9332dc83481,@object ; @__hip_cuid_f330c9332dc83481
	.section	.bss,"aw",@nobits
	.globl	__hip_cuid_f330c9332dc83481
__hip_cuid_f330c9332dc83481:
	.byte	0                               ; 0x0
	.size	__hip_cuid_f330c9332dc83481, 1

	.ident	"AMD clang version 19.0.0git (https://github.com/RadeonOpenCompute/llvm-project roc-6.4.0 25133 c7fe45cf4b819c5991fe208aaa96edf142730f1d)"
	.section	".note.GNU-stack","",@progbits
	.addrsig
	.addrsig_sym __hip_cuid_f330c9332dc83481
	.amdgpu_metadata
---
amdhsa.kernels:
  - .args:
      - .actual_access:  read_only
        .address_space:  global
        .offset:         0
        .size:           8
        .value_kind:     global_buffer
      - .offset:         8
        .size:           8
        .value_kind:     by_value
      - .actual_access:  read_only
        .address_space:  global
        .offset:         16
        .size:           8
        .value_kind:     global_buffer
      - .actual_access:  read_only
        .address_space:  global
        .offset:         24
        .size:           8
        .value_kind:     global_buffer
      - .actual_access:  read_only
        .address_space:  global
        .offset:         32
        .size:           8
        .value_kind:     global_buffer
      - .offset:         40
        .size:           8
        .value_kind:     by_value
      - .actual_access:  read_only
        .address_space:  global
        .offset:         48
        .size:           8
        .value_kind:     global_buffer
      - .actual_access:  read_only
        .address_space:  global
        .offset:         56
        .size:           8
        .value_kind:     global_buffer
      - .offset:         64
        .size:           4
        .value_kind:     by_value
      - .actual_access:  read_only
        .address_space:  global
        .offset:         72
        .size:           8
        .value_kind:     global_buffer
      - .actual_access:  read_only
        .address_space:  global
        .offset:         80
        .size:           8
        .value_kind:     global_buffer
      - .actual_access:  read_only
        .address_space:  global
        .offset:         88
        .size:           8
        .value_kind:     global_buffer
      - .actual_access:  write_only
        .address_space:  global
        .offset:         96
        .size:           8
        .value_kind:     global_buffer
    .group_segment_fixed_size: 0
    .kernarg_segment_align: 8
    .kernarg_segment_size: 104
    .language:       OpenCL C
    .language_version:
      - 2
      - 0
    .max_flat_workgroup_size: 90
    .name:           fft_rtc_fwd_len2700_factors_3_10_10_3_3_wgs_90_tpt_90_halfLds_dp_op_CI_CI_unitstride_sbrr_C2R_dirReg
    .private_segment_fixed_size: 0
    .sgpr_count:     29
    .sgpr_spill_count: 0
    .symbol:         fft_rtc_fwd_len2700_factors_3_10_10_3_3_wgs_90_tpt_90_halfLds_dp_op_CI_CI_unitstride_sbrr_C2R_dirReg.kd
    .uniform_work_group_size: 1
    .uses_dynamic_stack: false
    .vgpr_count:     247
    .vgpr_spill_count: 0
    .wavefront_size: 32
    .workgroup_processor_mode: 1
amdhsa.target:   amdgcn-amd-amdhsa--gfx1030
amdhsa.version:
  - 1
  - 2
...

	.end_amdgpu_metadata
